;; amdgpu-corpus repo=pytorch/pytorch kind=compiled arch=gfx1201 opt=O3
	.amdgcn_target "amdgcn-amd-amdhsa--gfx1201"
	.amdhsa_code_object_version 6
	.section	.text._ZN2at6native12_GLOBAL__N_125multi_tensor_apply_kernelINS1_32FusedOptimizerTensorListMetadataILi4EEENS1_22FusedAdamMathFunctorMPIfffN3c108BFloat16ES7_fLi4ELNS0_9ADAM_MODEE0ELb0EEEJPKfdddddbSB_SB_EEEvT_T0_DpT1_,"axG",@progbits,_ZN2at6native12_GLOBAL__N_125multi_tensor_apply_kernelINS1_32FusedOptimizerTensorListMetadataILi4EEENS1_22FusedAdamMathFunctorMPIfffN3c108BFloat16ES7_fLi4ELNS0_9ADAM_MODEE0ELb0EEEJPKfdddddbSB_SB_EEEvT_T0_DpT1_,comdat
	.globl	_ZN2at6native12_GLOBAL__N_125multi_tensor_apply_kernelINS1_32FusedOptimizerTensorListMetadataILi4EEENS1_22FusedAdamMathFunctorMPIfffN3c108BFloat16ES7_fLi4ELNS0_9ADAM_MODEE0ELb0EEEJPKfdddddbSB_SB_EEEvT_T0_DpT1_ ; -- Begin function _ZN2at6native12_GLOBAL__N_125multi_tensor_apply_kernelINS1_32FusedOptimizerTensorListMetadataILi4EEENS1_22FusedAdamMathFunctorMPIfffN3c108BFloat16ES7_fLi4ELNS0_9ADAM_MODEE0ELb0EEEJPKfdddddbSB_SB_EEEvT_T0_DpT1_
	.p2align	8
	.type	_ZN2at6native12_GLOBAL__N_125multi_tensor_apply_kernelINS1_32FusedOptimizerTensorListMetadataILi4EEENS1_22FusedAdamMathFunctorMPIfffN3c108BFloat16ES7_fLi4ELNS0_9ADAM_MODEE0ELb0EEEJPKfdddddbSB_SB_EEEvT_T0_DpT1_,@function
_ZN2at6native12_GLOBAL__N_125multi_tensor_apply_kernelINS1_32FusedOptimizerTensorListMetadataILi4EEENS1_22FusedAdamMathFunctorMPIfffN3c108BFloat16ES7_fLi4ELNS0_9ADAM_MODEE0ELb0EEEJPKfdddddbSB_SB_EEEvT_T0_DpT1_: ; @_ZN2at6native12_GLOBAL__N_125multi_tensor_apply_kernelINS1_32FusedOptimizerTensorListMetadataILi4EEENS1_22FusedAdamMathFunctorMPIfffN3c108BFloat16ES7_fLi4ELNS0_9ADAM_MODEE0ELb0EEEJPKfdddddbSB_SB_EEEvT_T0_DpT1_
; %bb.0:
	v_mov_b32_e32 v1, ttmp9
	s_mov_b32 s21, 0
	global_load_u8 v1, v1, s[0:1] offset:1728
	s_clause 0x1
	s_load_b256 s[4:11], s[0:1], 0xd10
	s_load_b128 s[16:19], s[0:1], 0xd30
	s_wait_kmcnt 0x0
	s_cmp_eq_u64 s[4:5], 0
	s_wait_loadcnt 0x0
	v_readfirstlane_b32 s2, v1
	s_cbranch_scc1 .LBB0_20
; %bb.1:
	s_load_b32 s3, s[4:5], 0x0
	s_wait_kmcnt 0x0
	v_mov_b32_e32 v25, s3
	s_cbranch_execnz .LBB0_3
.LBB0_2:
	v_cvt_f32_f64_e32 v25, s[6:7]
.LBB0_3:
	s_load_b128 s[12:15], s[0:1], 0xd48
	s_wait_kmcnt 0x0
	s_cmp_eq_u64 s[14:15], 0
	s_cselect_b32 s3, -1, 0
	s_wait_alu 0xfffe
	s_and_b32 vcc_lo, exec_lo, s3
	s_cbranch_vccnz .LBB0_5
; %bb.4:
	s_load_b32 s3, s[14:15], 0x0
	s_wait_kmcnt 0x0
	s_cmp_neq_f32 s3, 1.0
	s_cselect_b32 s3, -1, 0
.LBB0_5:
	s_wait_alu 0xfffe
	s_and_not1_b32 vcc_lo, exec_lo, s3
	s_cbranch_vccnz .LBB0_82
; %bb.6:
	s_load_b32 s3, s[0:1], 0xd40
	v_cmp_neq_f64_e64 vcc_lo, s[8:9], 1.0
	s_mov_b32 s14, 0x55555555
	s_mov_b32 s15, 0x3fe55555
	;; [unrolled: 1-line block ×18, first 2 shown]
	s_wait_kmcnt 0x0
	s_bitcmp1_b32 s3, 0
	s_mov_b32 s40, 0x9999999c
	s_cselect_b32 s33, -1, 0
	s_and_b32 s2, s2, 0xff
	s_mov_b32 s41, 0x3fd99999
	s_wait_alu 0xfffe
	s_lshl_b32 s78, s2, 3
	s_clause 0x1
	s_load_b64 s[2:3], s[0:1], s78 offset:0x5a0
	s_load_b64 s[4:5], s[0:1], s78 offset:0x480
	s_mov_b32 s43, 0xbfe55555
	s_mov_b32 s42, s14
	;; [unrolled: 1-line block ×18, first 2 shown]
	s_wait_kmcnt 0x0
	s_load_b32 s2, s[2:3], 0x0
	s_mov_b32 s60, 0x623fde64
	s_mov_b32 s61, 0x3ec71dee
	;; [unrolled: 1-line block ×16, first 2 shown]
	s_mov_b32 s20, ttmp9
	s_wait_kmcnt 0x0
	v_cvt_f64_f32_e32 v[1:2], s2
	s_delay_alu instid0(VALU_DEP_1) | instskip(NEXT) | instid1(VALU_DEP_2)
	v_cndmask_b32_e32 v4, 0x3ff00000, v2, vcc_lo
	v_cndmask_b32_e32 v3, 0, v1, vcc_lo
	s_delay_alu instid0(VALU_DEP_1)
	v_cmp_neq_f64_e32 vcc_lo, 0, v[3:4]
	s_and_b32 s2, vcc_lo, exec_lo
	s_cselect_b32 s7, s9, 0x3ff00000
	s_cselect_b32 s6, s8, 0
	s_wait_alu 0xfffe
	v_frexp_mant_f64_e64 v[5:6], |s[6:7]|
	v_cmp_lt_f64_e64 s79, |s[6:7]|, 1.0
	v_cmp_neq_f64_e64 s80, |s[6:7]|, 1.0
	v_cmp_eq_f64_e64 s81, s[6:7], 0
	v_cmp_class_f64_e64 s82, s[6:7], 0x204
	v_cmp_gt_f64_e32 vcc_lo, s[14:15], v[5:6]
	s_wait_alu 0xfffd
	v_cndmask_b32_e64 v7, 0, 1, vcc_lo
	s_delay_alu instid0(VALU_DEP_1) | instskip(NEXT) | instid1(VALU_DEP_1)
	v_ldexp_f64 v[5:6], v[5:6], v7
	v_add_f64_e32 v[7:8], 1.0, v[5:6]
	v_add_f64_e32 v[13:14], -1.0, v[5:6]
	s_delay_alu instid0(VALU_DEP_2) | instskip(SKIP_1) | instid1(VALU_DEP_1)
	v_rcp_f64_e32 v[9:10], v[7:8]
	v_add_f64_e32 v[15:16], -1.0, v[7:8]
	v_add_f64_e64 v[5:6], v[5:6], -v[15:16]
	s_delay_alu instid0(TRANS32_DEP_1) | instskip(NEXT) | instid1(VALU_DEP_1)
	v_fma_f64 v[11:12], -v[7:8], v[9:10], 1.0
	v_fma_f64 v[9:10], v[11:12], v[9:10], v[9:10]
	s_delay_alu instid0(VALU_DEP_1) | instskip(NEXT) | instid1(VALU_DEP_1)
	v_fma_f64 v[11:12], -v[7:8], v[9:10], 1.0
	v_fma_f64 v[9:10], v[11:12], v[9:10], v[9:10]
	s_delay_alu instid0(VALU_DEP_1) | instskip(NEXT) | instid1(VALU_DEP_1)
	v_mul_f64_e32 v[11:12], v[13:14], v[9:10]
	v_mul_f64_e32 v[17:18], v[7:8], v[11:12]
	s_delay_alu instid0(VALU_DEP_1) | instskip(NEXT) | instid1(VALU_DEP_1)
	v_fma_f64 v[7:8], v[11:12], v[7:8], -v[17:18]
	v_fma_f64 v[5:6], v[11:12], v[5:6], v[7:8]
	s_delay_alu instid0(VALU_DEP_1) | instskip(NEXT) | instid1(VALU_DEP_1)
	v_add_f64_e32 v[7:8], v[17:18], v[5:6]
	v_add_f64_e64 v[15:16], v[13:14], -v[7:8]
	v_add_f64_e64 v[17:18], v[7:8], -v[17:18]
	s_delay_alu instid0(VALU_DEP_2) | instskip(NEXT) | instid1(VALU_DEP_2)
	v_add_f64_e64 v[13:14], v[13:14], -v[15:16]
	v_add_f64_e64 v[5:6], v[17:18], -v[5:6]
	s_delay_alu instid0(VALU_DEP_2) | instskip(NEXT) | instid1(VALU_DEP_1)
	v_add_f64_e64 v[7:8], v[13:14], -v[7:8]
	v_add_f64_e32 v[5:6], v[5:6], v[7:8]
	s_delay_alu instid0(VALU_DEP_1) | instskip(NEXT) | instid1(VALU_DEP_1)
	v_add_f64_e32 v[5:6], v[15:16], v[5:6]
	v_mul_f64_e32 v[5:6], v[9:10], v[5:6]
	s_delay_alu instid0(VALU_DEP_1) | instskip(NEXT) | instid1(VALU_DEP_1)
	v_add_f64_e32 v[7:8], v[11:12], v[5:6]
	v_add_f64_e64 v[9:10], v[7:8], -v[11:12]
	v_mul_f64_e32 v[11:12], v[7:8], v[7:8]
	s_delay_alu instid0(VALU_DEP_2) | instskip(NEXT) | instid1(VALU_DEP_2)
	v_add_f64_e64 v[5:6], v[5:6], -v[9:10]
	v_fma_f64 v[9:10], v[7:8], v[7:8], -v[11:12]
	s_delay_alu instid0(VALU_DEP_2) | instskip(NEXT) | instid1(VALU_DEP_1)
	v_add_f64_e32 v[13:14], v[5:6], v[5:6]
	v_fma_f64 v[9:10], v[7:8], v[13:14], v[9:10]
	s_delay_alu instid0(VALU_DEP_1) | instskip(NEXT) | instid1(VALU_DEP_1)
	v_add_f64_e32 v[13:14], v[11:12], v[9:10]
	v_fma_f64 v[15:16], v[13:14], s[24:25], s[22:23]
	v_add_f64_e64 v[11:12], v[13:14], -v[11:12]
	v_mul_f64_e32 v[21:22], v[7:8], v[13:14]
	s_delay_alu instid0(VALU_DEP_3) | instskip(NEXT) | instid1(VALU_DEP_3)
	v_fma_f64 v[15:16], v[13:14], v[15:16], s[26:27]
	v_add_f64_e64 v[9:10], v[9:10], -v[11:12]
	s_delay_alu instid0(VALU_DEP_2) | instskip(NEXT) | instid1(VALU_DEP_1)
	v_fma_f64 v[15:16], v[13:14], v[15:16], s[28:29]
	v_fma_f64 v[15:16], v[13:14], v[15:16], s[30:31]
	s_delay_alu instid0(VALU_DEP_1) | instskip(NEXT) | instid1(VALU_DEP_1)
	v_fma_f64 v[15:16], v[13:14], v[15:16], s[34:35]
	v_fma_f64 v[15:16], v[13:14], v[15:16], s[36:37]
	s_delay_alu instid0(VALU_DEP_1) | instskip(NEXT) | instid1(VALU_DEP_1)
	;; [unrolled: 3-line block ×3, first 2 shown]
	v_mul_f64_e32 v[17:18], v[13:14], v[15:16]
	v_fma_f64 v[11:12], v[13:14], v[15:16], -v[17:18]
	s_delay_alu instid0(VALU_DEP_1) | instskip(NEXT) | instid1(VALU_DEP_1)
	v_fma_f64 v[11:12], v[9:10], v[15:16], v[11:12]
	v_add_f64_e32 v[15:16], v[17:18], v[11:12]
	s_delay_alu instid0(VALU_DEP_1) | instskip(SKIP_1) | instid1(VALU_DEP_2)
	v_add_f64_e32 v[19:20], s[14:15], v[15:16]
	v_add_f64_e64 v[17:18], v[15:16], -v[17:18]
	v_add_f64_e32 v[23:24], s[42:43], v[19:20]
	s_delay_alu instid0(VALU_DEP_2) | instskip(SKIP_1) | instid1(VALU_DEP_3)
	v_add_f64_e64 v[11:12], v[11:12], -v[17:18]
	v_fma_f64 v[17:18], v[13:14], v[7:8], -v[21:22]
	v_add_f64_e64 v[15:16], v[15:16], -v[23:24]
	s_delay_alu instid0(VALU_DEP_3) | instskip(NEXT) | instid1(VALU_DEP_3)
	v_add_f64_e32 v[11:12], s[46:47], v[11:12]
	v_fma_f64 v[13:14], v[13:14], v[5:6], v[17:18]
	v_ldexp_f64 v[5:6], v[5:6], 1
	s_delay_alu instid0(VALU_DEP_3) | instskip(NEXT) | instid1(VALU_DEP_3)
	v_add_f64_e32 v[11:12], v[11:12], v[15:16]
	v_fma_f64 v[9:10], v[9:10], v[7:8], v[13:14]
	v_ldexp_f64 v[7:8], v[7:8], 1
	s_delay_alu instid0(VALU_DEP_3) | instskip(NEXT) | instid1(VALU_DEP_3)
	v_add_f64_e32 v[13:14], v[19:20], v[11:12]
	v_add_f64_e32 v[15:16], v[21:22], v[9:10]
	s_delay_alu instid0(VALU_DEP_2) | instskip(NEXT) | instid1(VALU_DEP_2)
	v_add_f64_e64 v[17:18], v[19:20], -v[13:14]
	v_mul_f64_e32 v[19:20], v[15:16], v[13:14]
	v_add_f64_e64 v[21:22], v[15:16], -v[21:22]
	s_delay_alu instid0(VALU_DEP_3) | instskip(NEXT) | instid1(VALU_DEP_3)
	v_add_f64_e32 v[11:12], v[11:12], v[17:18]
	v_fma_f64 v[17:18], v[15:16], v[13:14], -v[19:20]
	s_delay_alu instid0(VALU_DEP_3) | instskip(NEXT) | instid1(VALU_DEP_2)
	v_add_f64_e64 v[9:10], v[9:10], -v[21:22]
	v_fma_f64 v[11:12], v[15:16], v[11:12], v[17:18]
	s_delay_alu instid0(VALU_DEP_1) | instskip(SKIP_1) | instid1(VALU_DEP_2)
	v_fma_f64 v[9:10], v[9:10], v[13:14], v[11:12]
	v_frexp_exp_i32_f64_e32 v13, s[6:7]
	v_add_f64_e32 v[11:12], v[19:20], v[9:10]
	s_delay_alu instid0(VALU_DEP_2) | instskip(NEXT) | instid1(VALU_DEP_1)
	v_subrev_co_ci_u32_e64 v13, null, 0, v13, vcc_lo
	v_cvt_f64_i32_e32 v[13:14], v13
	s_delay_alu instid0(VALU_DEP_3) | instskip(SKIP_1) | instid1(VALU_DEP_3)
	v_add_f64_e32 v[15:16], v[7:8], v[11:12]
	v_add_f64_e64 v[17:18], v[11:12], -v[19:20]
	v_mul_f64_e32 v[19:20], s[44:45], v[13:14]
	s_delay_alu instid0(VALU_DEP_3) | instskip(NEXT) | instid1(VALU_DEP_3)
	v_add_f64_e64 v[7:8], v[15:16], -v[7:8]
	v_add_f64_e64 v[9:10], v[9:10], -v[17:18]
	s_delay_alu instid0(VALU_DEP_3) | instskip(NEXT) | instid1(VALU_DEP_3)
	v_fma_f64 v[17:18], v[13:14], s[44:45], -v[19:20]
	v_add_f64_e64 v[7:8], v[11:12], -v[7:8]
	s_delay_alu instid0(VALU_DEP_3) | instskip(NEXT) | instid1(VALU_DEP_3)
	v_add_f64_e32 v[5:6], v[5:6], v[9:10]
	v_fma_f64 v[9:10], v[13:14], s[48:49], v[17:18]
	s_delay_alu instid0(VALU_DEP_2) | instskip(NEXT) | instid1(VALU_DEP_2)
	v_add_f64_e32 v[5:6], v[5:6], v[7:8]
	v_add_f64_e32 v[7:8], v[19:20], v[9:10]
	s_delay_alu instid0(VALU_DEP_2) | instskip(NEXT) | instid1(VALU_DEP_2)
	v_add_f64_e32 v[11:12], v[15:16], v[5:6]
	v_add_f64_e64 v[19:20], v[7:8], -v[19:20]
	s_delay_alu instid0(VALU_DEP_2) | instskip(SKIP_1) | instid1(VALU_DEP_3)
	v_add_f64_e32 v[13:14], v[7:8], v[11:12]
	v_add_f64_e64 v[15:16], v[11:12], -v[15:16]
	v_add_f64_e64 v[9:10], v[9:10], -v[19:20]
	s_delay_alu instid0(VALU_DEP_3) | instskip(NEXT) | instid1(VALU_DEP_3)
	v_add_f64_e64 v[17:18], v[13:14], -v[7:8]
	v_add_f64_e64 v[5:6], v[5:6], -v[15:16]
	s_delay_alu instid0(VALU_DEP_2) | instskip(SKIP_1) | instid1(VALU_DEP_3)
	v_add_f64_e64 v[21:22], v[13:14], -v[17:18]
	v_add_f64_e64 v[11:12], v[11:12], -v[17:18]
	v_add_f64_e32 v[15:16], v[9:10], v[5:6]
	s_delay_alu instid0(VALU_DEP_3) | instskip(NEXT) | instid1(VALU_DEP_1)
	v_add_f64_e64 v[7:8], v[7:8], -v[21:22]
	v_add_f64_e32 v[7:8], v[11:12], v[7:8]
	s_delay_alu instid0(VALU_DEP_3) | instskip(NEXT) | instid1(VALU_DEP_2)
	v_add_f64_e64 v[11:12], v[15:16], -v[9:10]
	v_add_f64_e32 v[7:8], v[15:16], v[7:8]
	s_delay_alu instid0(VALU_DEP_2) | instskip(SKIP_1) | instid1(VALU_DEP_3)
	v_add_f64_e64 v[15:16], v[15:16], -v[11:12]
	v_add_f64_e64 v[5:6], v[5:6], -v[11:12]
	v_add_f64_e32 v[17:18], v[13:14], v[7:8]
	s_delay_alu instid0(VALU_DEP_3) | instskip(NEXT) | instid1(VALU_DEP_2)
	v_add_f64_e64 v[9:10], v[9:10], -v[15:16]
	v_add_f64_e64 v[11:12], v[17:18], -v[13:14]
	s_delay_alu instid0(VALU_DEP_2) | instskip(NEXT) | instid1(VALU_DEP_2)
	v_add_f64_e32 v[5:6], v[5:6], v[9:10]
	v_add_f64_e64 v[7:8], v[7:8], -v[11:12]
	s_delay_alu instid0(VALU_DEP_1) | instskip(NEXT) | instid1(VALU_DEP_1)
	v_add_f64_e32 v[5:6], v[5:6], v[7:8]
	v_add_f64_e32 v[7:8], v[17:18], v[5:6]
	s_delay_alu instid0(VALU_DEP_1) | instskip(SKIP_1) | instid1(VALU_DEP_2)
	v_add_f64_e64 v[9:10], v[7:8], -v[17:18]
	v_mul_f64_e32 v[11:12], v[3:4], v[7:8]
	v_add_f64_e64 v[5:6], v[5:6], -v[9:10]
	s_delay_alu instid0(VALU_DEP_2) | instskip(SKIP_1) | instid1(VALU_DEP_2)
	v_fma_f64 v[7:8], v[3:4], v[7:8], -v[11:12]
	v_cmp_class_f64_e64 vcc_lo, v[11:12], 0x204
	v_fma_f64 v[5:6], v[3:4], v[5:6], v[7:8]
	s_delay_alu instid0(VALU_DEP_1) | instskip(SKIP_1) | instid1(VALU_DEP_1)
	v_add_f64_e32 v[7:8], v[11:12], v[5:6]
	s_wait_alu 0xfffd
	v_dual_cndmask_b32 v10, v8, v12 :: v_dual_cndmask_b32 v9, v7, v11
	v_add_f64_e64 v[7:8], v[7:8], -v[11:12]
	v_cmp_neq_f64_e64 s77, v[3:4], |v[3:4]|
	s_delay_alu instid0(VALU_DEP_3) | instskip(NEXT) | instid1(VALU_DEP_3)
	v_cmp_neq_f64_e64 vcc_lo, 0x7ff00000, |v[9:10]|
	v_add_f64_e64 v[5:6], v[5:6], -v[7:8]
	v_trunc_f64_e32 v[7:8], v[3:4]
	s_wait_alu 0xfffd
	s_delay_alu instid0(VALU_DEP_2) | instskip(SKIP_4) | instid1(VALU_DEP_4)
	v_cndmask_b32_e32 v6, 0, v6, vcc_lo
	v_mul_f64_e32 v[13:14], s[50:51], v[9:10]
	v_cmp_nlt_f64_e64 s2, 0x40900000, v[9:10]
	v_cmp_ngt_f64_e64 s3, 0xc090cc00, v[9:10]
	v_cndmask_b32_e32 v5, 0, v5, vcc_lo
	v_rndne_f64_e32 v[13:14], v[13:14]
	s_and_b32 vcc_lo, s3, s2
	s_delay_alu instid0(VALU_DEP_1) | instskip(SKIP_1) | instid1(VALU_DEP_2)
	v_fma_f64 v[15:16], v[13:14], s[52:53], v[9:10]
	v_cvt_i32_f64_e32 v19, v[13:14]
	v_fma_f64 v[15:16], v[13:14], s[54:55], v[15:16]
	s_delay_alu instid0(VALU_DEP_1) | instskip(NEXT) | instid1(VALU_DEP_1)
	v_fma_f64 v[17:18], v[15:16], s[58:59], s[56:57]
	v_fma_f64 v[17:18], v[15:16], v[17:18], s[60:61]
	s_delay_alu instid0(VALU_DEP_1) | instskip(NEXT) | instid1(VALU_DEP_1)
	v_fma_f64 v[17:18], v[15:16], v[17:18], s[62:63]
	v_fma_f64 v[17:18], v[15:16], v[17:18], s[64:65]
	s_delay_alu instid0(VALU_DEP_1) | instskip(NEXT) | instid1(VALU_DEP_1)
	v_fma_f64 v[17:18], v[15:16], v[17:18], s[66:67]
	v_fma_f64 v[17:18], v[15:16], v[17:18], s[68:69]
	s_delay_alu instid0(VALU_DEP_1) | instskip(NEXT) | instid1(VALU_DEP_1)
	v_fma_f64 v[17:18], v[15:16], v[17:18], s[70:71]
	v_fma_f64 v[17:18], v[15:16], v[17:18], s[72:73]
	s_delay_alu instid0(VALU_DEP_1) | instskip(NEXT) | instid1(VALU_DEP_1)
	v_fma_f64 v[17:18], v[15:16], v[17:18], s[74:75]
	v_fma_f64 v[17:18], v[15:16], v[17:18], 1.0
	s_delay_alu instid0(VALU_DEP_1) | instskip(NEXT) | instid1(VALU_DEP_1)
	v_fma_f64 v[13:14], v[15:16], v[17:18], 1.0
	v_ldexp_f64 v[11:12], v[13:14], v19
	v_mul_f64_e32 v[13:14], 0.5, v[3:4]
	s_delay_alu instid0(VALU_DEP_2) | instskip(NEXT) | instid1(VALU_DEP_2)
	v_cndmask_b32_e64 v12, 0x7ff00000, v12, s2
	v_trunc_f64_e32 v[9:10], v[13:14]
	s_wait_alu 0xfffe
	s_delay_alu instid0(VALU_DEP_4) | instskip(SKIP_2) | instid1(VALU_DEP_1)
	v_cndmask_b32_e32 v11, 0, v11, vcc_lo
	v_cmp_eq_f64_e32 vcc_lo, v[7:8], v[3:4]
	v_cndmask_b32_e64 v12, 0, v12, s3
	v_fma_f64 v[5:6], v[11:12], v[5:6], v[11:12]
	v_cmp_class_f64_e64 s3, v[11:12], 0x204
	v_cmp_neq_f64_e64 s2, v[9:10], v[13:14]
	s_wait_alu 0xf1ff
	s_delay_alu instid0(VALU_DEP_2) | instskip(NEXT) | instid1(VALU_DEP_4)
	v_cndmask_b32_e64 v6, v6, v12, s3
	v_cndmask_b32_e64 v5, v5, v11, s3
	v_cmp_gt_f64_e64 s3, 0, v[3:4]
	s_wait_alu 0xfffd
	s_delay_alu instid0(VALU_DEP_2) | instskip(SKIP_1) | instid1(SALU_CYCLE_1)
	v_cndmask_b32_e32 v8, 0, v5, vcc_lo
	s_and_b32 s76, vcc_lo, s2
	s_and_b32 s2, s76, exec_lo
	s_cselect_b32 s2, s7, 0x3ff00000
	s_xor_b32 s77, s77, s79
	s_wait_alu 0xfffe
	v_bfi_b32 v6, 0x7fffffff, v6, s2
	v_cmp_neq_f64_e64 s2, s[10:11], 1.0
	s_delay_alu instid0(VALU_DEP_2) | instskip(SKIP_2) | instid1(VALU_DEP_3)
	v_cndmask_b32_e32 v7, 0x7ff80000, v6, vcc_lo
	v_cmp_lt_f64_e64 vcc_lo, s[6:7], 0
	s_wait_alu 0xf1ff
	v_cndmask_b32_e64 v2, 0x3ff00000, v2, s2
	v_cndmask_b32_e64 v1, 0, v1, s2
	s_and_b32 s2, s77, exec_lo
	s_cselect_b32 s2, 0, 0x7ff00000
	s_and_b32 s77, s80, exec_lo
	v_cmp_class_f64_e64 s77, v[3:4], 0x204
	s_wait_alu 0xfffd
	v_dual_cndmask_b32 v5, v5, v8 :: v_dual_cndmask_b32 v6, v6, v7
	v_cmp_neq_f64_e32 vcc_lo, 0, v[1:2]
	s_wait_alu 0xfffe
	s_cselect_b32 s2, s2, 0x3ff00000
	s_xor_b32 s3, s3, s81
	s_wait_alu 0xfffe
	v_cndmask_b32_e64 v6, v6, s2, s77
	s_or_b32 s2, s81, s82
	s_and_b32 s3, s3, exec_lo
	s_cselect_b32 s3, 0, 0x7ff00000
	s_and_b32 s76, s76, exec_lo
	s_cselect_b32 s76, s7, 0
	s_wait_alu 0xfffe
	s_or_b32 s79, s2, s77
	v_mov_b32_e32 v7, s76
	s_delay_alu instid0(VALU_DEP_1) | instskip(NEXT) | instid1(VALU_DEP_1)
	v_bfi_b32 v7, 0x7fffffff, s3, v7
	v_cndmask_b32_e64 v6, v6, v7, s2
	s_and_b32 s2, vcc_lo, exec_lo
	s_cselect_b32 s77, s11, 0x3ff00000
	s_cselect_b32 s76, s10, 0
	s_wait_alu 0xfffe
	v_frexp_mant_f64_e64 v[7:8], |s[76:77]|
	s_delay_alu instid0(VALU_DEP_1) | instskip(SKIP_2) | instid1(VALU_DEP_1)
	v_cmp_gt_f64_e32 vcc_lo, s[14:15], v[7:8]
	s_wait_alu 0xfffd
	v_cndmask_b32_e64 v9, 0, 1, vcc_lo
	v_ldexp_f64 v[7:8], v[7:8], v9
	s_delay_alu instid0(VALU_DEP_1) | instskip(SKIP_1) | instid1(VALU_DEP_2)
	v_add_f64_e32 v[9:10], 1.0, v[7:8]
	v_add_f64_e32 v[15:16], -1.0, v[7:8]
	v_rcp_f64_e32 v[11:12], v[9:10]
	v_add_f64_e32 v[17:18], -1.0, v[9:10]
	s_delay_alu instid0(VALU_DEP_1) | instskip(NEXT) | instid1(TRANS32_DEP_1)
	v_add_f64_e64 v[7:8], v[7:8], -v[17:18]
	v_fma_f64 v[13:14], -v[9:10], v[11:12], 1.0
	s_delay_alu instid0(VALU_DEP_1) | instskip(NEXT) | instid1(VALU_DEP_1)
	v_fma_f64 v[11:12], v[13:14], v[11:12], v[11:12]
	v_fma_f64 v[13:14], -v[9:10], v[11:12], 1.0
	s_delay_alu instid0(VALU_DEP_1) | instskip(NEXT) | instid1(VALU_DEP_1)
	v_fma_f64 v[11:12], v[13:14], v[11:12], v[11:12]
	v_mul_f64_e32 v[13:14], v[15:16], v[11:12]
	s_delay_alu instid0(VALU_DEP_1) | instskip(NEXT) | instid1(VALU_DEP_1)
	v_mul_f64_e32 v[19:20], v[9:10], v[13:14]
	v_fma_f64 v[9:10], v[13:14], v[9:10], -v[19:20]
	s_delay_alu instid0(VALU_DEP_1) | instskip(NEXT) | instid1(VALU_DEP_1)
	v_fma_f64 v[7:8], v[13:14], v[7:8], v[9:10]
	v_add_f64_e32 v[9:10], v[19:20], v[7:8]
	s_delay_alu instid0(VALU_DEP_1) | instskip(SKIP_1) | instid1(VALU_DEP_2)
	v_add_f64_e64 v[17:18], v[15:16], -v[9:10]
	v_add_f64_e64 v[19:20], v[9:10], -v[19:20]
	;; [unrolled: 1-line block ×3, first 2 shown]
	s_delay_alu instid0(VALU_DEP_2) | instskip(NEXT) | instid1(VALU_DEP_2)
	v_add_f64_e64 v[7:8], v[19:20], -v[7:8]
	v_add_f64_e64 v[9:10], v[15:16], -v[9:10]
	s_delay_alu instid0(VALU_DEP_1) | instskip(NEXT) | instid1(VALU_DEP_1)
	v_add_f64_e32 v[7:8], v[7:8], v[9:10]
	v_add_f64_e32 v[7:8], v[17:18], v[7:8]
	s_delay_alu instid0(VALU_DEP_1) | instskip(NEXT) | instid1(VALU_DEP_1)
	v_mul_f64_e32 v[7:8], v[11:12], v[7:8]
	v_add_f64_e32 v[9:10], v[13:14], v[7:8]
	s_delay_alu instid0(VALU_DEP_1) | instskip(SKIP_1) | instid1(VALU_DEP_2)
	v_add_f64_e64 v[11:12], v[9:10], -v[13:14]
	v_mul_f64_e32 v[13:14], v[9:10], v[9:10]
	v_add_f64_e64 v[7:8], v[7:8], -v[11:12]
	s_delay_alu instid0(VALU_DEP_2) | instskip(NEXT) | instid1(VALU_DEP_2)
	v_fma_f64 v[11:12], v[9:10], v[9:10], -v[13:14]
	v_add_f64_e32 v[15:16], v[7:8], v[7:8]
	s_delay_alu instid0(VALU_DEP_1) | instskip(NEXT) | instid1(VALU_DEP_1)
	v_fma_f64 v[11:12], v[9:10], v[15:16], v[11:12]
	v_add_f64_e32 v[15:16], v[13:14], v[11:12]
	s_delay_alu instid0(VALU_DEP_1)
	v_fma_f64 v[17:18], v[15:16], s[24:25], s[22:23]
	v_add_f64_e64 v[13:14], v[15:16], -v[13:14]
	v_mul_f64_e32 v[23:24], v[9:10], v[15:16]
	v_cmp_neq_f64_e64 s22, |s[76:77]|, 1.0
	v_cmp_eq_f64_e64 s23, s[76:77], 0
	v_cmp_class_f64_e64 s24, s[76:77], 0x204
	v_fma_f64 v[17:18], v[15:16], v[17:18], s[26:27]
	v_add_f64_e64 v[11:12], v[11:12], -v[13:14]
	s_delay_alu instid0(VALU_DEP_2) | instskip(SKIP_1) | instid1(VALU_DEP_1)
	v_fma_f64 v[17:18], v[15:16], v[17:18], s[28:29]
	s_mov_b32 s29, 0
	v_fma_f64 v[17:18], v[15:16], v[17:18], s[30:31]
	s_delay_alu instid0(VALU_DEP_1) | instskip(NEXT) | instid1(VALU_DEP_1)
	v_fma_f64 v[17:18], v[15:16], v[17:18], s[34:35]
	v_fma_f64 v[17:18], v[15:16], v[17:18], s[36:37]
	s_delay_alu instid0(VALU_DEP_1) | instskip(NEXT) | instid1(VALU_DEP_1)
	v_fma_f64 v[17:18], v[15:16], v[17:18], s[38:39]
	v_fma_f64 v[17:18], v[15:16], v[17:18], s[40:41]
	s_delay_alu instid0(VALU_DEP_1) | instskip(NEXT) | instid1(VALU_DEP_1)
	v_mul_f64_e32 v[19:20], v[15:16], v[17:18]
	v_fma_f64 v[13:14], v[15:16], v[17:18], -v[19:20]
	s_delay_alu instid0(VALU_DEP_1) | instskip(NEXT) | instid1(VALU_DEP_1)
	v_fma_f64 v[13:14], v[11:12], v[17:18], v[13:14]
	v_add_f64_e32 v[17:18], v[19:20], v[13:14]
	s_delay_alu instid0(VALU_DEP_1) | instskip(SKIP_2) | instid1(VALU_DEP_3)
	v_add_f64_e32 v[21:22], s[14:15], v[17:18]
	v_add_f64_e64 v[19:20], v[17:18], -v[19:20]
	v_cmp_lt_f64_e64 s15, |s[76:77]|, 1.0
	v_add_f64_e32 v[26:27], s[42:43], v[21:22]
	s_delay_alu instid0(VALU_DEP_3) | instskip(SKIP_3) | instid1(VALU_DEP_3)
	v_add_f64_e64 v[13:14], v[13:14], -v[19:20]
	v_fma_f64 v[19:20], v[15:16], v[9:10], -v[23:24]
	s_wait_alu 0xfffe
	s_mov_b32 s43, s29
	v_add_f64_e64 v[17:18], v[17:18], -v[26:27]
	s_delay_alu instid0(VALU_DEP_3) | instskip(NEXT) | instid1(VALU_DEP_3)
	v_add_f64_e32 v[13:14], s[46:47], v[13:14]
	v_fma_f64 v[15:16], v[15:16], v[7:8], v[19:20]
	v_ldexp_f64 v[7:8], v[7:8], 1
	s_delay_alu instid0(VALU_DEP_3) | instskip(NEXT) | instid1(VALU_DEP_3)
	v_add_f64_e32 v[13:14], v[13:14], v[17:18]
	v_fma_f64 v[11:12], v[11:12], v[9:10], v[15:16]
	v_ldexp_f64 v[9:10], v[9:10], 1
	s_delay_alu instid0(VALU_DEP_3) | instskip(NEXT) | instid1(VALU_DEP_3)
	v_add_f64_e32 v[15:16], v[21:22], v[13:14]
	v_add_f64_e32 v[17:18], v[23:24], v[11:12]
	s_delay_alu instid0(VALU_DEP_2) | instskip(NEXT) | instid1(VALU_DEP_2)
	v_add_f64_e64 v[19:20], v[21:22], -v[15:16]
	v_mul_f64_e32 v[21:22], v[17:18], v[15:16]
	v_add_f64_e64 v[23:24], v[17:18], -v[23:24]
	s_delay_alu instid0(VALU_DEP_3) | instskip(NEXT) | instid1(VALU_DEP_3)
	v_add_f64_e32 v[13:14], v[13:14], v[19:20]
	v_fma_f64 v[19:20], v[17:18], v[15:16], -v[21:22]
	s_delay_alu instid0(VALU_DEP_3) | instskip(NEXT) | instid1(VALU_DEP_2)
	v_add_f64_e64 v[11:12], v[11:12], -v[23:24]
	v_fma_f64 v[13:14], v[17:18], v[13:14], v[19:20]
	s_delay_alu instid0(VALU_DEP_1) | instskip(SKIP_1) | instid1(VALU_DEP_2)
	v_fma_f64 v[11:12], v[11:12], v[15:16], v[13:14]
	v_frexp_exp_i32_f64_e32 v15, s[76:77]
	v_add_f64_e32 v[13:14], v[21:22], v[11:12]
	s_delay_alu instid0(VALU_DEP_2) | instskip(NEXT) | instid1(VALU_DEP_1)
	v_subrev_co_ci_u32_e64 v15, null, 0, v15, vcc_lo
	v_cvt_f64_i32_e32 v[15:16], v15
	s_delay_alu instid0(VALU_DEP_3) | instskip(SKIP_1) | instid1(VALU_DEP_3)
	v_add_f64_e32 v[17:18], v[9:10], v[13:14]
	v_add_f64_e64 v[19:20], v[13:14], -v[21:22]
	v_mul_f64_e32 v[21:22], s[44:45], v[15:16]
	s_delay_alu instid0(VALU_DEP_3) | instskip(NEXT) | instid1(VALU_DEP_3)
	v_add_f64_e64 v[9:10], v[17:18], -v[9:10]
	v_add_f64_e64 v[11:12], v[11:12], -v[19:20]
	s_delay_alu instid0(VALU_DEP_3) | instskip(NEXT) | instid1(VALU_DEP_3)
	v_fma_f64 v[19:20], v[15:16], s[44:45], -v[21:22]
	v_add_f64_e64 v[9:10], v[13:14], -v[9:10]
	s_delay_alu instid0(VALU_DEP_3) | instskip(NEXT) | instid1(VALU_DEP_3)
	v_add_f64_e32 v[7:8], v[7:8], v[11:12]
	v_fma_f64 v[11:12], v[15:16], s[48:49], v[19:20]
	s_delay_alu instid0(VALU_DEP_2) | instskip(NEXT) | instid1(VALU_DEP_2)
	v_add_f64_e32 v[7:8], v[7:8], v[9:10]
	v_add_f64_e32 v[9:10], v[21:22], v[11:12]
	s_delay_alu instid0(VALU_DEP_2) | instskip(NEXT) | instid1(VALU_DEP_2)
	v_add_f64_e32 v[13:14], v[17:18], v[7:8]
	v_add_f64_e64 v[21:22], v[9:10], -v[21:22]
	s_delay_alu instid0(VALU_DEP_2) | instskip(SKIP_1) | instid1(VALU_DEP_3)
	v_add_f64_e32 v[15:16], v[9:10], v[13:14]
	v_add_f64_e64 v[17:18], v[13:14], -v[17:18]
	v_add_f64_e64 v[11:12], v[11:12], -v[21:22]
	s_delay_alu instid0(VALU_DEP_3) | instskip(NEXT) | instid1(VALU_DEP_3)
	v_add_f64_e64 v[19:20], v[15:16], -v[9:10]
	v_add_f64_e64 v[7:8], v[7:8], -v[17:18]
	s_delay_alu instid0(VALU_DEP_2) | instskip(SKIP_1) | instid1(VALU_DEP_3)
	v_add_f64_e64 v[23:24], v[15:16], -v[19:20]
	v_add_f64_e64 v[13:14], v[13:14], -v[19:20]
	v_add_f64_e32 v[17:18], v[11:12], v[7:8]
	s_delay_alu instid0(VALU_DEP_3) | instskip(NEXT) | instid1(VALU_DEP_1)
	v_add_f64_e64 v[9:10], v[9:10], -v[23:24]
	v_add_f64_e32 v[9:10], v[13:14], v[9:10]
	s_delay_alu instid0(VALU_DEP_3) | instskip(NEXT) | instid1(VALU_DEP_2)
	v_add_f64_e64 v[13:14], v[17:18], -v[11:12]
	v_add_f64_e32 v[9:10], v[17:18], v[9:10]
	s_delay_alu instid0(VALU_DEP_2) | instskip(SKIP_1) | instid1(VALU_DEP_3)
	v_add_f64_e64 v[17:18], v[17:18], -v[13:14]
	v_add_f64_e64 v[7:8], v[7:8], -v[13:14]
	v_add_f64_e32 v[19:20], v[15:16], v[9:10]
	s_delay_alu instid0(VALU_DEP_3) | instskip(NEXT) | instid1(VALU_DEP_2)
	v_add_f64_e64 v[11:12], v[11:12], -v[17:18]
	v_add_f64_e64 v[13:14], v[19:20], -v[15:16]
	s_delay_alu instid0(VALU_DEP_2) | instskip(NEXT) | instid1(VALU_DEP_2)
	v_add_f64_e32 v[7:8], v[7:8], v[11:12]
	v_add_f64_e64 v[9:10], v[9:10], -v[13:14]
	s_delay_alu instid0(VALU_DEP_1) | instskip(NEXT) | instid1(VALU_DEP_1)
	v_add_f64_e32 v[7:8], v[7:8], v[9:10]
	v_add_f64_e32 v[9:10], v[19:20], v[7:8]
	s_delay_alu instid0(VALU_DEP_1) | instskip(SKIP_1) | instid1(VALU_DEP_2)
	v_add_f64_e64 v[11:12], v[9:10], -v[19:20]
	v_mul_f64_e32 v[13:14], v[1:2], v[9:10]
	v_add_f64_e64 v[7:8], v[7:8], -v[11:12]
	s_delay_alu instid0(VALU_DEP_2) | instskip(SKIP_1) | instid1(VALU_DEP_2)
	v_fma_f64 v[9:10], v[1:2], v[9:10], -v[13:14]
	v_cmp_class_f64_e64 vcc_lo, v[13:14], 0x204
	v_fma_f64 v[7:8], v[1:2], v[7:8], v[9:10]
	s_delay_alu instid0(VALU_DEP_1) | instskip(SKIP_1) | instid1(VALU_DEP_1)
	v_add_f64_e32 v[9:10], v[13:14], v[7:8]
	s_wait_alu 0xfffd
	v_dual_cndmask_b32 v12, v10, v14 :: v_dual_cndmask_b32 v11, v9, v13
	v_add_f64_e64 v[9:10], v[9:10], -v[13:14]
	v_cndmask_b32_e64 v5, v5, 0, s79
	s_delay_alu instid0(VALU_DEP_3)
	v_mul_f64_e32 v[15:16], s[50:51], v[11:12]
	v_cmp_nlt_f64_e64 s2, 0x40900000, v[11:12]
	v_cmp_neq_f64_e64 vcc_lo, 0x7ff00000, |v[11:12]|
	v_cmp_ngt_f64_e64 s3, 0xc090cc00, v[11:12]
	v_add_f64_e64 v[5:6], -v[5:6], 1.0
	v_add_f64_e64 v[7:8], v[7:8], -v[9:10]
	v_trunc_f64_e32 v[9:10], v[1:2]
	v_rndne_f64_e32 v[15:16], v[15:16]
	s_wait_alu 0xfffd
	s_delay_alu instid0(VALU_DEP_3) | instskip(SKIP_1) | instid1(VALU_DEP_2)
	v_dual_cndmask_b32 v8, 0, v8 :: v_dual_cndmask_b32 v7, 0, v7
	s_and_b32 vcc_lo, s3, s2
	v_fma_f64 v[17:18], v[15:16], s[52:53], v[11:12]
	v_cvt_i32_f64_e32 v21, v[15:16]
	s_delay_alu instid0(VALU_DEP_2) | instskip(NEXT) | instid1(VALU_DEP_1)
	v_fma_f64 v[17:18], v[15:16], s[54:55], v[17:18]
	v_fma_f64 v[19:20], v[17:18], s[58:59], s[56:57]
	s_delay_alu instid0(VALU_DEP_1) | instskip(NEXT) | instid1(VALU_DEP_1)
	v_fma_f64 v[19:20], v[17:18], v[19:20], s[60:61]
	v_fma_f64 v[19:20], v[17:18], v[19:20], s[62:63]
	s_delay_alu instid0(VALU_DEP_1) | instskip(NEXT) | instid1(VALU_DEP_1)
	;; [unrolled: 3-line block ×5, first 2 shown]
	v_fma_f64 v[19:20], v[17:18], v[19:20], 1.0
	v_fma_f64 v[15:16], v[17:18], v[19:20], 1.0
	s_delay_alu instid0(VALU_DEP_1) | instskip(SKIP_1) | instid1(VALU_DEP_2)
	v_ldexp_f64 v[13:14], v[15:16], v21
	v_mul_f64_e32 v[15:16], 0.5, v[1:2]
	v_cndmask_b32_e64 v14, 0x7ff00000, v14, s2
	s_delay_alu instid0(VALU_DEP_2) | instskip(SKIP_1) | instid1(VALU_DEP_4)
	v_trunc_f64_e32 v[11:12], v[15:16]
	s_wait_alu 0xfffe
	v_cndmask_b32_e32 v13, 0, v13, vcc_lo
	v_cmp_eq_f64_e32 vcc_lo, v[9:10], v[1:2]
	v_cndmask_b32_e64 v14, 0, v14, s3
	s_delay_alu instid0(VALU_DEP_1) | instskip(SKIP_3) | instid1(VALU_DEP_2)
	v_fma_f64 v[7:8], v[13:14], v[7:8], v[13:14]
	v_cmp_class_f64_e64 s3, v[13:14], 0x204
	v_cmp_neq_f64_e64 s2, v[11:12], v[15:16]
	s_wait_alu 0xf1ff
	v_cndmask_b32_e64 v7, v7, v13, s3
	s_delay_alu instid0(VALU_DEP_4) | instskip(SKIP_2) | instid1(VALU_DEP_3)
	v_cndmask_b32_e64 v8, v8, v14, s3
	v_cmp_neq_f64_e64 s3, v[1:2], |v[1:2]|
	s_wait_alu 0xfffd
	v_cndmask_b32_e32 v10, 0, v7, vcc_lo
	s_and_b32 s14, vcc_lo, s2
	s_wait_alu 0xfffe
	s_and_b32 s2, s14, exec_lo
	s_cselect_b32 s2, s77, 0x3ff00000
	s_wait_alu 0xfffe
	v_bfi_b32 v8, 0x7fffffff, v8, s2
	v_cmp_gt_f64_e64 s2, 0, v[1:2]
	s_delay_alu instid0(VALU_DEP_2)
	v_cndmask_b32_e32 v9, 0x7ff80000, v8, vcc_lo
	v_cmp_lt_f64_e64 vcc_lo, s[76:77], 0
	s_xor_b32 s3, s3, s15
	s_wait_alu 0xfffe
	s_and_b32 s3, s3, exec_lo
	s_cselect_b32 s3, 0, 0x7ff00000
	s_and_b32 s15, s22, exec_lo
	v_cmp_class_f64_e64 s15, v[1:2], 0x204
	s_wait_alu 0xfffe
	s_cselect_b32 s3, s3, 0x3ff00000
	s_xor_b32 s2, s2, s23
	s_wait_alu 0xfffd
	v_cndmask_b32_e32 v8, v8, v9, vcc_lo
	s_wait_alu 0xfffe
	s_delay_alu instid0(VALU_DEP_1)
	v_cndmask_b32_e64 v8, v8, s3, s15
	v_cndmask_b32_e32 v7, v7, v10, vcc_lo
	s_or_b32 vcc_lo, s23, s24
	s_and_b32 s2, s2, exec_lo
	s_cselect_b32 s2, 0, 0x7ff00000
	s_and_b32 s3, s14, exec_lo
	s_cselect_b32 s3, s77, 0
	s_wait_alu 0xfffe
	v_mov_b32_e32 v9, s3
	s_delay_alu instid0(VALU_DEP_1) | instskip(SKIP_2) | instid1(VALU_DEP_1)
	v_bfi_b32 v9, 0x7fffffff, s2, v9
	s_or_b32 s2, vcc_lo, s15
	s_add_nc_u64 s[14:15], s[0:1], s[20:21]
	v_cndmask_b32_e32 v8, v8, v9, vcc_lo
	s_wait_alu 0xfffe
	v_cndmask_b32_e64 v7, v7, 0, s2
	v_cmp_o_f64_e32 vcc_lo, s[76:77], v[1:2]
	s_delay_alu instid0(VALU_DEP_2) | instskip(SKIP_1) | instid1(VALU_DEP_1)
	v_add_f64_e64 v[7:8], -v[7:8], 1.0
	s_wait_alu 0xfffd
	v_cndmask_b32_e32 v2, 0x7ff80000, v8, vcc_lo
	s_delay_alu instid0(VALU_DEP_2) | instskip(NEXT) | instid1(VALU_DEP_1)
	v_cndmask_b32_e32 v1, 0, v7, vcc_lo
	v_cmp_gt_f64_e32 vcc_lo, 0x10000000, v[1:2]
	s_and_b32 s2, vcc_lo, exec_lo
	s_cselect_b32 s2, 0x100, 0
	v_cmp_o_f64_e32 vcc_lo, s[6:7], v[3:4]
	s_wait_alu 0xfffe
	v_ldexp_f64 v[1:2], v[1:2], s2
	s_mul_u64 s[2:3], s[20:21], 3
	s_wait_alu 0xfffe
	s_add_nc_u64 s[2:3], s[14:15], s[2:3]
	s_clause 0x2
	s_load_b32 s14, s[2:3], 0x800
	s_load_b64 s[26:27], s[0:1], s78 offset:0x0
	s_load_b64 s[20:21], s[0:1], s78 offset:0x120
	s_cselect_b32 s2, 0xffffff80, 0
	s_clause 0x1
	s_load_b64 s[24:25], s[0:1], s78 offset:0x240
	s_load_b64 s[22:23], s[0:1], s78 offset:0x360
	s_wait_kmcnt 0x0
	s_ashr_i32 s15, s14, 31
	s_wait_alu 0xfffe
	s_lshl_b64 s[6:7], s[14:15], 18
	s_lshl_b64 s[40:41], s[14:15], 16
	s_wait_alu 0xfffe
	s_add_nc_u64 s[30:31], s[26:27], s[6:7]
	s_add_nc_u64 s[34:35], s[20:21], s[6:7]
	s_lshl_b64 s[14:15], s[14:15], 17
	s_wait_alu 0xfffe
	s_or_b32 s3, s30, s34
	s_add_nc_u64 s[36:37], s[24:25], s[14:15]
	s_wait_alu 0xfffe
	s_and_b32 s3, s3, 15
	s_add_nc_u64 s[38:39], s[22:23], s[14:15]
	s_wait_alu 0xfffe
	s_cmp_lg_u32 s3, 0
	s_cselect_b32 s3, -1, 0
	s_and_b32 s28, s36, 7
	s_delay_alu instid0(VALU_DEP_1)
	v_rsq_f64_e32 v[7:8], v[1:2]
	s_wait_alu 0xfffe
	s_cmp_lg_u64 s[28:29], 0
	s_cselect_b32 s44, -1, 0
	s_and_b32 s28, s38, 7
	s_and_b32 s42, s4, 3
	s_wait_alu 0xfffe
	s_or_b32 s3, s3, s44
	s_or_b64 s[28:29], s[28:29], s[42:43]
	s_wait_alu 0xfffe
	s_cmp_lg_u64 s[28:29], 0
	s_cselect_b32 s28, -1, 0
	s_wait_alu 0xfffe
	s_or_b32 s3, s3, s28
	s_sub_nc_u64 s[28:29], s[4:5], s[40:41]
	s_delay_alu instid0(TRANS32_DEP_1) | instskip(SKIP_1) | instid1(VALU_DEP_1)
	v_mul_f64_e32 v[9:10], v[1:2], v[7:8]
	v_mul_f64_e32 v[7:8], 0.5, v[7:8]
	v_fma_f64 v[11:12], -v[7:8], v[9:10], 0.5
	s_delay_alu instid0(VALU_DEP_1) | instskip(SKIP_1) | instid1(VALU_DEP_2)
	v_fma_f64 v[9:10], v[9:10], v[11:12], v[9:10]
	v_fma_f64 v[7:8], v[7:8], v[11:12], v[7:8]
	v_fma_f64 v[11:12], -v[9:10], v[9:10], v[1:2]
	s_delay_alu instid0(VALU_DEP_1) | instskip(NEXT) | instid1(VALU_DEP_1)
	v_fma_f64 v[9:10], v[11:12], v[7:8], v[9:10]
	v_fma_f64 v[11:12], -v[9:10], v[9:10], v[1:2]
	s_delay_alu instid0(VALU_DEP_1) | instskip(SKIP_4) | instid1(VALU_DEP_3)
	v_fma_f64 v[7:8], v[11:12], v[7:8], v[9:10]
	v_cndmask_b32_e32 v12, 0x7ff80000, v6, vcc_lo
	v_cndmask_b32_e32 v11, 0, v5, vcc_lo
	s_wait_alu 0xfffe
	s_and_not1_b32 vcc_lo, exec_lo, s3
	v_ldexp_f64 v[3:4], v[7:8], s2
	v_cmp_class_f64_e64 s2, v[1:2], 0x260
	s_wait_alu 0xf1ff
	s_delay_alu instid0(VALU_DEP_1) | instskip(NEXT) | instid1(VALU_DEP_3)
	v_cndmask_b32_e64 v10, v4, v2, s2
	v_cndmask_b32_e64 v9, v3, v1, s2
	s_mov_b32 s2, -1
	s_wait_alu 0xfffe
	s_cbranch_vccz .LBB0_22
; %bb.7:
	v_cmp_gt_i64_e64 s2, 0x10000, s[28:29]
	v_dual_mov_b32 v14, 0 :: v_dual_lshlrev_b32 v13, 2, v0
	s_mov_b32 s44, exec_lo
	s_and_b32 s2, s2, exec_lo
	s_cselect_b32 s41, s29, 0
	s_cselect_b32 s40, s28, 0x10000
	s_wait_alu 0xfffe
	v_cmpx_gt_i64_e64 s[40:41], v[13:14]
	s_cbranch_execz .LBB0_21
; %bb.8:
	v_cvt_f32_f64_e32 v4, v[11:12]
	v_cvt_f32_f64_e32 v26, s[16:17]
	;; [unrolled: 1-line block ×6, first 2 shown]
	s_load_b32 s2, s[0:1], 0xd64
	s_cmp_lg_u64 s[12:13], 0
	v_lshl_or_b32 v31, v0, 3, s14
	s_cselect_b32 s45, -1, 0
	s_mov_b32 s43, 0
	v_mov_b32_e32 v32, s15
	s_wait_alu 0xfffe
	s_mov_b32 s48, s43
	v_lshlrev_b32_e32 v33, 4, v0
	s_wait_kmcnt 0x0
	s_and_b32 s46, s2, 0xffff
	s_wait_alu 0xfffe
	s_lshl_b32 s47, s46, 3
	s_lshl_b32 s42, s46, 4
	v_div_scale_f32 v1, null, v4, v4, v25
	v_div_scale_f32 v6, vcc_lo, v25, v4, v25
	v_cmp_neq_f32_e64 s2, 0, v26
	s_delay_alu instid0(VALU_DEP_3)
	v_rcp_f32_e32 v5, v1
	v_xor_b32_e32 v2, 0x80000000, v1
	s_delay_alu instid0(TRANS32_DEP_1) | instid1(VALU_DEP_1)
	v_fma_f32 v1, v2, v5, 1.0
	s_delay_alu instid0(VALU_DEP_1) | instskip(SKIP_1) | instid1(VALU_DEP_1)
	v_fmac_f32_e32 v5, v1, v5
	v_mov_b32_e32 v1, v14
	v_dual_mul_f32 v7, v6, v5 :: v_dual_mov_b32 v16, v1
	v_mov_b32_e32 v15, v0
	s_delay_alu instid0(VALU_DEP_2) | instskip(NEXT) | instid1(VALU_DEP_1)
	v_fma_f32 v3, v2, v7, v6
	v_fmac_f32_e32 v7, v3, v5
	s_delay_alu instid0(VALU_DEP_1) | instskip(SKIP_2) | instid1(VALU_DEP_2)
	v_fmac_f32_e32 v6, v2, v7
	v_dual_mov_b32 v2, v13 :: v_dual_mov_b32 v3, v14
	s_wait_alu 0xfffd
	v_div_fmas_f32 v5, v6, v5, v7
	s_delay_alu instid0(VALU_DEP_1)
	v_div_fixup_f32 v13, v5, v4, v25
	s_branch .LBB0_10
.LBB0_9:                                ;   in Loop: Header=BB0_10 Depth=1
	v_add_co_u32 v15, vcc_lo, v15, s46
	s_wait_alu 0xfffd
	v_add_co_ci_u32_e64 v16, null, 0, v16, vcc_lo
	v_add_co_u32 v31, s3, v31, s47
	s_wait_alu 0xf1ff
	v_add_co_ci_u32_e64 v32, null, 0, v32, s3
	s_delay_alu instid0(VALU_DEP_3) | instskip(SKIP_2) | instid1(VALU_DEP_1)
	v_lshlrev_b64_e32 v[2:3], 2, v[15:16]
	s_add_nc_u64 s[30:31], s[30:31], s[42:43]
	s_add_nc_u64 s[34:35], s[34:35], s[42:43]
	v_cmp_le_i64_e32 vcc_lo, s[40:41], v[2:3]
	s_or_b32 s48, vcc_lo, s48
	s_wait_alu 0xfffe
	s_and_not1_b32 exec_lo, exec_lo, s48
	s_cbranch_execz .LBB0_21
.LBB0_10:                               ; =>This Inner Loop Header: Depth=1
	v_lshlrev_b64_e32 v[1:2], 1, v[2:3]
	v_add_co_u32 v17, s3, s30, v33
	s_wait_alu 0xf1ff
	v_add_co_ci_u32_e64 v18, null, s31, 0, s3
	v_add_co_u32 v19, s3, s34, v33
	s_delay_alu instid0(VALU_DEP_4)
	v_add_co_u32 v21, vcc_lo, s36, v1
	s_wait_alu 0xf1ff
	v_add_co_ci_u32_e64 v20, null, s35, 0, s3
	s_wait_alu 0xfffd
	v_add_co_ci_u32_e64 v22, null, s37, v2, vcc_lo
	v_add_co_u32 v23, vcc_lo, s38, v1
	s_wait_alu 0xfffd
	v_add_co_ci_u32_e64 v24, null, s39, v2, vcc_lo
	global_load_b128 v[5:8], v[17:18], off
	global_load_b128 v[1:4], v[19:20], off
	global_load_b64 v[21:22], v[21:22], off
	global_load_b64 v[23:24], v[23:24], off
	s_and_not1_b32 vcc_lo, exec_lo, s45
	s_wait_alu 0xfffe
	s_cbranch_vccnz .LBB0_12
; %bb.11:                               ;   in Loop: Header=BB0_10 Depth=1
	global_load_b32 v34, v14, s[12:13]
	s_wait_loadcnt 0x0
	v_div_scale_f32 v35, null, v34, v34, v1
	s_delay_alu instid0(VALU_DEP_1) | instskip(NEXT) | instid1(TRANS32_DEP_1)
	v_rcp_f32_e32 v36, v35
	v_fma_f32 v37, -v35, v36, 1.0
	s_delay_alu instid0(VALU_DEP_1) | instskip(SKIP_1) | instid1(VALU_DEP_1)
	v_fmac_f32_e32 v36, v37, v36
	v_div_scale_f32 v37, vcc_lo, v1, v34, v1
	v_mul_f32_e32 v38, v37, v36
	s_delay_alu instid0(VALU_DEP_1) | instskip(NEXT) | instid1(VALU_DEP_1)
	v_fma_f32 v39, -v35, v38, v37
	v_fmac_f32_e32 v38, v39, v36
	s_delay_alu instid0(VALU_DEP_1) | instskip(SKIP_1) | instid1(VALU_DEP_1)
	v_fma_f32 v35, -v35, v38, v37
	s_wait_alu 0xfffd
	v_div_fmas_f32 v35, v35, v36, v38
	s_delay_alu instid0(VALU_DEP_1)
	v_div_fixup_f32 v1, v35, v34, v1
.LBB0_12:                               ;   in Loop: Header=BB0_10 Depth=1
	s_and_not1_b32 vcc_lo, exec_lo, s45
	s_wait_alu 0xfffe
	s_cbranch_vccnz .LBB0_14
; %bb.13:                               ;   in Loop: Header=BB0_10 Depth=1
	global_load_b32 v34, v14, s[12:13]
	s_wait_loadcnt 0x0
	v_div_scale_f32 v35, null, v34, v34, v2
	s_delay_alu instid0(VALU_DEP_1) | instskip(NEXT) | instid1(TRANS32_DEP_1)
	v_rcp_f32_e32 v36, v35
	v_fma_f32 v37, -v35, v36, 1.0
	s_delay_alu instid0(VALU_DEP_1) | instskip(SKIP_1) | instid1(VALU_DEP_1)
	v_fmac_f32_e32 v36, v37, v36
	v_div_scale_f32 v37, vcc_lo, v2, v34, v2
	v_mul_f32_e32 v38, v37, v36
	s_delay_alu instid0(VALU_DEP_1) | instskip(NEXT) | instid1(VALU_DEP_1)
	v_fma_f32 v39, -v35, v38, v37
	v_fmac_f32_e32 v38, v39, v36
	s_delay_alu instid0(VALU_DEP_1) | instskip(SKIP_1) | instid1(VALU_DEP_1)
	v_fma_f32 v35, -v35, v38, v37
	s_wait_alu 0xfffd
	v_div_fmas_f32 v35, v35, v36, v38
	s_delay_alu instid0(VALU_DEP_1)
	v_div_fixup_f32 v2, v35, v34, v2
.LBB0_14:                               ;   in Loop: Header=BB0_10 Depth=1
	;; [unrolled: 24-line block ×4, first 2 shown]
	s_wait_loadcnt 0x2
	v_cndmask_b32_e64 v34, v3, -v3, s33
	v_cndmask_b32_e64 v46, v1, -v1, s33
	s_wait_loadcnt 0x0
	v_lshlrev_b32_e32 v36, 16, v24
	v_lshlrev_b32_e32 v50, 16, v22
	v_fma_f32 v35, v7, v26, v34
	v_fma_f32 v51, v5, v26, v46
	s_delay_alu instid0(VALU_DEP_2) | instskip(NEXT) | instid1(VALU_DEP_1)
	v_cndmask_b32_e64 v34, v34, v35, s2
	v_mul_f32_e32 v35, v34, v34
	v_fma_f32 v34, -v29, v34, v34
	s_delay_alu instid0(VALU_DEP_2) | instskip(NEXT) | instid1(VALU_DEP_1)
	v_fma_f32 v37, -v30, v35, v35
	v_fmac_f32_e32 v37, v30, v36
	s_delay_alu instid0(VALU_DEP_1) | instskip(SKIP_2) | instid1(VALU_DEP_2)
	v_mul_f32_e32 v35, 0x4f800000, v37
	v_cmp_gt_f32_e32 vcc_lo, 0xf800000, v37
	s_wait_alu 0xfffd
	v_cndmask_b32_e32 v35, v37, v35, vcc_lo
	s_delay_alu instid0(VALU_DEP_1) | instskip(NEXT) | instid1(TRANS32_DEP_1)
	v_sqrt_f32_e32 v36, v35
	v_add_nc_u32_e32 v38, -1, v36
	v_add_nc_u32_e32 v39, 1, v36
	s_delay_alu instid0(VALU_DEP_2) | instskip(NEXT) | instid1(VALU_DEP_2)
	v_fma_f32 v40, -v38, v36, v35
	v_fma_f32 v41, -v39, v36, v35
	s_delay_alu instid0(VALU_DEP_2) | instskip(SKIP_1) | instid1(VALU_DEP_1)
	v_cmp_ge_f32_e64 s3, 0, v40
	s_wait_alu 0xf1ff
	v_cndmask_b32_e64 v36, v36, v38, s3
	v_cndmask_b32_e64 v38, v2, -v2, s33
	v_cmp_lt_f32_e64 s3, 0, v41
	s_wait_alu 0xf1ff
	s_delay_alu instid0(VALU_DEP_1) | instskip(NEXT) | instid1(VALU_DEP_3)
	v_cndmask_b32_e64 v36, v36, v39, s3
	v_fma_f32 v39, v6, v26, v38
	s_delay_alu instid0(VALU_DEP_2) | instskip(NEXT) | instid1(VALU_DEP_2)
	v_mul_f32_e32 v40, 0x37800000, v36
	v_cndmask_b32_e64 v38, v38, v39, s2
	s_delay_alu instid0(VALU_DEP_1)
	v_dual_cndmask_b32 v36, v36, v40 :: v_dual_mul_f32 v39, v38, v38
	v_cmp_class_f32_e64 vcc_lo, v35, 0x260
	v_and_b32_e32 v40, 0xffff0000, v23
	v_fma_f32 v38, -v29, v38, v38
	v_lshlrev_b32_e32 v23, 16, v23
	s_wait_alu 0xfffd
	v_cndmask_b32_e32 v35, v36, v35, vcc_lo
	v_fma_f32 v36, -v30, v39, v39
	s_delay_alu instid0(VALU_DEP_1) | instskip(NEXT) | instid1(VALU_DEP_3)
	v_fmac_f32_e32 v36, v30, v40
	v_div_scale_f32 v39, null, v28, v28, v35
	v_div_scale_f32 v44, vcc_lo, v35, v28, v35
	s_delay_alu instid0(VALU_DEP_3) | instskip(SKIP_1) | instid1(VALU_DEP_4)
	v_mul_f32_e32 v41, 0x4f800000, v36
	v_cmp_gt_f32_e64 s3, 0xf800000, v36
	v_rcp_f32_e32 v40, v39
	s_wait_alu 0xf1ff
	s_delay_alu instid0(VALU_DEP_1) | instskip(NEXT) | instid1(VALU_DEP_1)
	v_cndmask_b32_e64 v41, v36, v41, s3
	v_sqrt_f32_e32 v43, v41
	s_delay_alu instid0(TRANS32_DEP_2)
	v_fma_f32 v42, -v39, v40, 1.0
	s_delay_alu instid0(TRANS32_DEP_1) | instid1(VALU_DEP_1)
	v_dual_fmac_f32 v40, v42, v40 :: v_dual_add_nc_u32 v45, -1, v43
	s_delay_alu instid0(VALU_DEP_1) | instskip(NEXT) | instid1(VALU_DEP_2)
	v_dual_mul_f32 v42, v44, v40 :: v_dual_add_nc_u32 v47, 1, v43
	v_fma_f32 v49, -v45, v43, v41
	s_delay_alu instid0(VALU_DEP_2) | instskip(NEXT) | instid1(VALU_DEP_3)
	v_fma_f32 v48, -v39, v42, v44
	v_fma_f32 v52, -v47, v43, v41
	s_delay_alu instid0(VALU_DEP_3) | instskip(NEXT) | instid1(VALU_DEP_3)
	v_cmp_ge_f32_e64 s4, 0, v49
	v_fmac_f32_e32 v42, v48, v40
	v_and_b32_e32 v48, 0xffff0000, v21
	v_lshlrev_b32_e32 v21, 16, v21
	s_wait_alu 0xf1ff
	v_cndmask_b32_e64 v43, v43, v45, s4
	v_cmp_lt_f32_e64 s4, 0, v52
	v_fma_f32 v39, -v39, v42, v44
	v_cndmask_b32_e64 v45, v46, v51, s2
	s_wait_alu 0xf1ff
	s_delay_alu instid0(VALU_DEP_3)
	v_cndmask_b32_e64 v43, v43, v47, s4
	s_wait_alu 0xfffd
	v_div_fmas_f32 v39, v39, v40, v42
	v_cmp_class_f32_e64 vcc_lo, v41, 0x260
	v_cndmask_b32_e64 v47, v4, -v4, s33
	v_mul_f32_e32 v40, 0x37800000, v43
	s_delay_alu instid0(VALU_DEP_4) | instskip(SKIP_1) | instid1(VALU_DEP_4)
	v_div_fixup_f32 v35, v39, v28, v35
	v_mul_f32_e32 v42, v45, v45
	v_fma_f32 v49, v8, v26, v47
	v_fma_f32 v45, -v29, v45, v45
	v_cndmask_b32_e64 v39, v43, v40, s3
	v_dual_fmac_f32 v34, v29, v50 :: v_dual_add_f32 v43, v35, v27
	v_fma_f32 v40, -v30, v42, v42
	v_cndmask_b32_e64 v47, v47, v49, s2
	s_wait_alu 0xfffd
	s_delay_alu instid0(VALU_DEP_3) | instskip(NEXT) | instid1(VALU_DEP_3)
	v_dual_cndmask_b32 v35, v39, v41 :: v_dual_mul_f32 v42, v13, v34
	v_dual_fmac_f32 v45, v29, v21 :: v_dual_fmac_f32 v40, v30, v23
	s_delay_alu instid0(VALU_DEP_3) | instskip(NEXT) | instid1(VALU_DEP_3)
	v_mul_f32_e32 v58, v47, v47
	v_div_scale_f32 v39, null, v28, v28, v35
	s_delay_alu instid0(VALU_DEP_4) | instskip(SKIP_1) | instid1(VALU_DEP_3)
	v_div_scale_f32 v23, null, v43, v43, v42
	v_fma_f32 v47, -v29, v47, v47
	v_rcp_f32_e32 v46, v39
	s_delay_alu instid0(VALU_DEP_2) | instskip(NEXT) | instid1(TRANS32_DEP_2)
	v_rcp_f32_e32 v41, v23
	v_fma_f32 v52, -v39, v46, 1.0
	s_delay_alu instid0(TRANS32_DEP_1) | instskip(NEXT) | instid1(VALU_DEP_1)
	v_fma_f32 v50, -v23, v41, 1.0
	v_dual_fmac_f32 v46, v52, v46 :: v_dual_fmac_f32 v41, v50, v41
	v_div_scale_f32 v53, vcc_lo, v42, v43, v42
	v_div_scale_f32 v50, s4, v35, v28, v35
	s_delay_alu instid0(VALU_DEP_2) | instskip(SKIP_1) | instid1(VALU_DEP_3)
	v_dual_mul_f32 v49, v53, v41 :: v_dual_mul_f32 v44, 0x4f800000, v40
	v_cmp_gt_f32_e64 s3, 0xf800000, v40
	v_mul_f32_e32 v54, v50, v46
	s_delay_alu instid0(VALU_DEP_3)
	v_fma_f32 v56, -v23, v49, v53
	v_and_b32_e32 v24, 0xffff0000, v24
	s_wait_alu 0xf1ff
	v_cndmask_b32_e64 v44, v40, v44, s3
	v_fma_f32 v59, -v39, v54, v50
	v_fmac_f32_e32 v49, v56, v41
	s_delay_alu instid0(VALU_DEP_3) | instskip(NEXT) | instid1(VALU_DEP_2)
	v_sqrt_f32_e32 v51, v44
	v_fmac_f32_e32 v54, v59, v46
	s_delay_alu instid0(VALU_DEP_2) | instskip(NEXT) | instid1(VALU_DEP_2)
	v_fma_f32 v23, -v23, v49, v53
	v_fma_f32 v39, -v39, v54, v50
	s_wait_alu 0xfffd
	s_delay_alu instid0(VALU_DEP_2) | instskip(SKIP_1) | instid1(TRANS32_DEP_1)
	v_div_fmas_f32 v41, v23, v41, v49
	s_mov_b32 vcc_lo, s4
	v_add_nc_u32_e32 v55, 1, v51
	s_wait_alu 0xfffe
	v_div_fmas_f32 v23, v39, v46, v54
	v_cmp_class_f32_e64 vcc_lo, v44, 0x260
	v_add_nc_u32_e32 v52, -1, v51
	v_fma_f32 v60, -v55, v51, v44
	s_delay_alu instid0(VALU_DEP_4) | instskip(NEXT) | instid1(VALU_DEP_3)
	v_div_fixup_f32 v23, v23, v28, v35
	v_fma_f32 v57, -v52, v51, v44
	s_delay_alu instid0(VALU_DEP_2) | instskip(NEXT) | instid1(VALU_DEP_2)
	v_add_f32_e32 v46, v23, v27
	v_cmp_ge_f32_e64 s5, 0, v57
	s_wait_alu 0xf1ff
	s_delay_alu instid0(VALU_DEP_1) | instskip(SKIP_3) | instid1(VALU_DEP_2)
	v_cndmask_b32_e64 v51, v51, v52, s5
	v_cmp_lt_f32_e64 s5, 0, v60
	v_fma_f32 v52, -v30, v58, v58
	s_wait_alu 0xf1ff
	v_cndmask_b32_e64 v51, v51, v55, s5
	s_delay_alu instid0(VALU_DEP_1) | instskip(NEXT) | instid1(VALU_DEP_1)
	v_dual_fmac_f32 v52, v30, v24 :: v_dual_mul_f32 v39, 0x37800000, v51
	v_mul_f32_e32 v35, 0x4f800000, v52
	v_bfe_u32 v61, v52, 16, 1
	s_delay_alu instid0(VALU_DEP_3) | instskip(SKIP_1) | instid1(VALU_DEP_3)
	v_cndmask_b32_e64 v24, v51, v39, s3
	v_cmp_gt_f32_e64 s3, 0xf800000, v52
	v_add3_u32 v61, v52, v61, 0x7fff
	s_wait_alu 0xfffd
	s_delay_alu instid0(VALU_DEP_3) | instskip(SKIP_2) | instid1(VALU_DEP_2)
	v_cndmask_b32_e32 v23, v24, v44, vcc_lo
	s_wait_alu 0xf1ff
	v_cndmask_b32_e64 v24, v52, v35, s3
	v_div_scale_f32 v44, null, v28, v28, v23
	s_delay_alu instid0(VALU_DEP_2) | instskip(NEXT) | instid1(VALU_DEP_1)
	v_sqrt_f32_e32 v49, v24
	v_rcp_f32_e32 v50, v44
	s_delay_alu instid0(TRANS32_DEP_2) | instskip(NEXT) | instid1(TRANS32_DEP_1)
	v_add_nc_u32_e32 v53, -1, v49
	v_fma_f32 v54, -v44, v50, 1.0
	s_delay_alu instid0(VALU_DEP_2) | instskip(NEXT) | instid1(VALU_DEP_2)
	v_fma_f32 v57, -v53, v49, v24
	v_fmac_f32_e32 v50, v54, v50
	v_add_nc_u32_e32 v54, 1, v49
	s_delay_alu instid0(VALU_DEP_3) | instskip(NEXT) | instid1(VALU_DEP_2)
	v_cmp_ge_f32_e64 s5, 0, v57
	v_fma_f32 v59, -v54, v49, v24
	s_wait_alu 0xf1ff
	s_delay_alu instid0(VALU_DEP_2) | instskip(NEXT) | instid1(VALU_DEP_2)
	v_cndmask_b32_e64 v49, v49, v53, s5
	v_cmp_lt_f32_e64 s5, 0, v59
	v_and_b32_e32 v59, 0xffff0000, v22
	s_delay_alu instid0(VALU_DEP_1) | instskip(SKIP_1) | instid1(VALU_DEP_3)
	v_fmac_f32_e32 v47, v29, v59
	s_wait_alu 0xf1ff
	v_cndmask_b32_e64 v49, v49, v54, s5
	v_fmac_f32_e32 v38, v29, v48
	v_bfe_u32 v59, v36, 16, 1
	s_delay_alu instid0(VALU_DEP_2) | instskip(NEXT) | instid1(VALU_DEP_2)
	v_mul_f32_e32 v39, v13, v38
	v_add3_u32 v59, v36, v59, 0x7fff
	s_delay_alu instid0(VALU_DEP_2) | instskip(SKIP_1) | instid1(VALU_DEP_2)
	v_div_scale_f32 v35, null, v46, v46, v39
	v_div_scale_f32 v55, vcc_lo, v39, v46, v39
	v_rcp_f32_e32 v48, v35
	s_delay_alu instid0(TRANS32_DEP_1) | instskip(NEXT) | instid1(VALU_DEP_1)
	v_fma_f32 v51, -v35, v48, 1.0
	v_fmac_f32_e32 v48, v51, v48
	v_div_scale_f32 v51, s4, v23, v28, v23
	s_delay_alu instid0(VALU_DEP_2) | instskip(NEXT) | instid1(VALU_DEP_2)
	v_mul_f32_e32 v56, v55, v48
	v_mul_f32_e32 v58, v51, v50
	s_delay_alu instid0(VALU_DEP_2) | instskip(NEXT) | instid1(VALU_DEP_2)
	v_fma_f32 v60, -v35, v56, v55
	v_fma_f32 v53, -v44, v58, v51
	s_delay_alu instid0(VALU_DEP_2) | instskip(NEXT) | instid1(VALU_DEP_2)
	v_fmac_f32_e32 v56, v60, v48
	v_dual_fmac_f32 v58, v53, v50 :: v_dual_mul_f32 v53, 0x37800000, v49
	v_bfe_u32 v60, v37, 16, 1
	s_delay_alu instid0(VALU_DEP_3) | instskip(NEXT) | instid1(VALU_DEP_3)
	v_fma_f32 v35, -v35, v56, v55
	v_fma_f32 v44, -v44, v58, v51
	s_delay_alu instid0(VALU_DEP_3) | instskip(SKIP_1) | instid1(VALU_DEP_3)
	v_add3_u32 v60, v37, v60, 0x7fff
	s_wait_alu 0xfffd
	v_div_fmas_f32 v48, v35, v48, v56
	s_mov_b32 vcc_lo, s4
	s_wait_alu 0xfffe
	v_div_fmas_f32 v35, v44, v50, v58
	v_cndmask_b32_e64 v44, v49, v53, s3
	v_cmp_class_f32_e64 vcc_lo, v24, 0x260
	s_delay_alu instid0(VALU_DEP_3) | instskip(SKIP_1) | instid1(VALU_DEP_3)
	v_div_fixup_f32 v21, v35, v28, v23
	s_wait_alu 0xfffd
	v_dual_cndmask_b32 v35, v44, v24 :: v_dual_mul_f32 v44, v13, v45
	v_div_fixup_f32 v39, v48, v46, v39
	s_delay_alu instid0(VALU_DEP_3) | instskip(NEXT) | instid1(VALU_DEP_3)
	v_add_f32_e32 v49, v21, v27
	v_div_scale_f32 v50, null, v28, v28, v35
	v_div_scale_f32 v55, s3, v35, v28, v35
	s_delay_alu instid0(VALU_DEP_3) | instskip(NEXT) | instid1(VALU_DEP_3)
	v_div_scale_f32 v51, null, v49, v49, v44
	v_rcp_f32_e32 v53, v50
	v_div_scale_f32 v56, vcc_lo, v44, v49, v44
	s_delay_alu instid0(VALU_DEP_2) | instskip(SKIP_1) | instid1(TRANS32_DEP_2)
	v_rcp_f32_e32 v54, v51
	v_sub_f32_e32 v6, v6, v39
	v_fma_f32 v21, -v50, v53, 1.0
	s_delay_alu instid0(TRANS32_DEP_1) | instskip(NEXT) | instid1(VALU_DEP_2)
	v_fma_f32 v23, -v51, v54, 1.0
	v_fmac_f32_e32 v53, v21, v53
	v_add_co_u32 v21, s4, s24, v31
	s_delay_alu instid0(VALU_DEP_3) | instskip(SKIP_2) | instid1(VALU_DEP_2)
	v_fmac_f32_e32 v54, v23, v54
	s_wait_alu 0xf1ff
	v_add_co_ci_u32_e64 v22, null, s25, v32, s4
	v_dual_mul_f32 v57, v55, v53 :: v_dual_mul_f32 v58, v56, v54
	s_delay_alu instid0(VALU_DEP_1) | instskip(NEXT) | instid1(VALU_DEP_2)
	v_fma_f32 v23, -v50, v57, v55
	v_fma_f32 v24, -v51, v58, v56
	s_delay_alu instid0(VALU_DEP_2) | instskip(SKIP_1) | instid1(VALU_DEP_3)
	v_fmac_f32_e32 v57, v23, v53
	v_add_co_u32 v23, s4, s22, v31
	v_fmac_f32_e32 v58, v24, v54
	s_wait_alu 0xf1ff
	v_add_co_ci_u32_e64 v24, null, s23, v32, s4
	v_fma_f32 v50, -v50, v57, v55
	v_bfe_u32 v55, v38, 16, 1
	v_fma_f32 v51, -v51, v58, v56
	v_bfe_u32 v56, v47, 16, 1
	s_delay_alu instid0(VALU_DEP_3) | instskip(SKIP_1) | instid1(VALU_DEP_3)
	v_add3_u32 v55, v38, v55, 0x7fff
	s_wait_alu 0xfffd
	v_div_fmas_f32 v51, v51, v54, v58
	s_mov_b32 vcc_lo, s3
	v_bfe_u32 v54, v45, 16, 1
	s_wait_alu 0xfffe
	v_div_fmas_f32 v50, v50, v53, v57
	v_mul_f32_e32 v53, v13, v47
	v_cmp_o_f32_e32 vcc_lo, v47, v47
	v_and_b32_e32 v55, 0xffff0000, v55
	v_add3_u32 v54, v45, v54, 0x7fff
	v_div_fixup_f32 v35, v50, v28, v35
	v_bfe_u32 v50, v34, 16, 1
	v_cmp_o_f32_e64 s3, v38, v38
	s_delay_alu instid0(VALU_DEP_4) | instskip(NEXT) | instid1(VALU_DEP_4)
	v_lshrrev_b32_e32 v54, 16, v54
	v_add_f32_e32 v57, v35, v27
	s_delay_alu instid0(VALU_DEP_4) | instskip(SKIP_2) | instid1(VALU_DEP_4)
	v_add3_u32 v35, v34, v50, 0x7fff
	v_add3_u32 v50, v47, v56, 0x7fff
	v_bfe_u32 v56, v40, 16, 1
	v_div_scale_f32 v58, null, v57, v57, v53
	s_delay_alu instid0(VALU_DEP_3) | instskip(SKIP_1) | instid1(VALU_DEP_4)
	v_and_b32_e32 v50, 0xffff0000, v50
	v_lshrrev_b32_e32 v35, 16, v35
	v_add3_u32 v56, v40, v56, 0x7fff
	s_delay_alu instid0(VALU_DEP_4) | instskip(SKIP_3) | instid1(TRANS32_DEP_1)
	v_rcp_f32_e32 v62, v58
	s_wait_alu 0xfffd
	v_cndmask_b32_e32 v47, 0x7fc00000, v50, vcc_lo
	v_cmp_o_f32_e32 vcc_lo, v34, v34
	v_fma_f32 v50, -v58, v62, 1.0
	s_delay_alu instid0(VALU_DEP_1)
	v_fmac_f32_e32 v62, v50, v62
	s_wait_alu 0xfffd
	v_cndmask_b32_e32 v34, 0x7fc0, v35, vcc_lo
	v_div_scale_f32 v63, vcc_lo, v53, v57, v53
	s_wait_alu 0xf1ff
	v_cndmask_b32_e64 v35, 0x7fc00000, v55, s3
	v_cmp_o_f32_e64 s3, v45, v45
	v_lshrrev_b32_e32 v50, 16, v56
	v_mul_f32_e32 v45, v63, v62
	v_lshrrev_b32_e32 v55, 16, v60
	s_wait_alu 0xf1ff
	v_cndmask_b32_e64 v38, 0x7fc0, v54, s3
	v_and_b32_e32 v54, 0xffff0000, v59
	v_fma_f32 v59, -v58, v45, v63
	v_cmp_o_f32_e64 s3, v52, v52
	s_delay_alu instid0(VALU_DEP_4) | instskip(SKIP_1) | instid1(VALU_DEP_4)
	v_or_b32_e32 v38, v35, v38
	v_or3_b32 v35, 0, v34, v47
	v_fmac_f32_e32 v45, v59, v62
	s_delay_alu instid0(VALU_DEP_1) | instskip(SKIP_1) | instid1(VALU_DEP_1)
	v_fma_f32 v34, -v58, v45, v63
	s_wait_alu 0xfffd
	v_div_fmas_f32 v45, v34, v62, v45
	v_or3_b32 v34, v38, 0, 0
	v_div_fixup_f32 v38, v41, v43, v42
	v_and_b32_e32 v56, 0xffff0000, v61
	v_div_fixup_f32 v41, v51, v49, v44
	v_div_fixup_f32 v42, v45, v57, v53
	s_and_not1_b32 vcc_lo, exec_lo, s45
	v_sub_f32_e32 v7, v7, v38
	v_cndmask_b32_e64 v47, 0x7fc00000, v56, s3
	v_cmp_o_f32_e64 s3, v37, v37
	v_dual_sub_f32 v5, v5, v41 :: v_dual_sub_f32 v8, v8, v42
	s_wait_alu 0xf1ff
	s_delay_alu instid0(VALU_DEP_2) | instskip(SKIP_1) | instid1(VALU_DEP_2)
	v_cndmask_b32_e64 v37, 0x7fc0, v55, s3
	v_cmp_o_f32_e64 s3, v36, v36
	v_or3_b32 v37, 0, v37, v47
	s_wait_alu 0xf1ff
	s_delay_alu instid0(VALU_DEP_2) | instskip(SKIP_2) | instid1(VALU_DEP_1)
	v_cndmask_b32_e64 v36, 0x7fc00000, v54, s3
	v_cmp_o_f32_e64 s3, v40, v40
	s_wait_alu 0xf1ff
	v_cndmask_b32_e64 v40, 0x7fc0, v50, s3
	s_delay_alu instid0(VALU_DEP_1) | instskip(NEXT) | instid1(VALU_DEP_1)
	v_or_b32_e32 v36, v36, v40
	v_or3_b32 v36, v36, 0, 0
	global_store_b128 v[17:18], v[5:8], off
	global_store_b64 v[21:22], v[34:35], off
	global_store_b64 v[23:24], v[36:37], off
	s_wait_alu 0xfffe
	s_cbranch_vccnz .LBB0_9
; %bb.19:                               ;   in Loop: Header=BB0_10 Depth=1
	global_store_b128 v[19:20], v[1:4], off
	s_branch .LBB0_9
.LBB0_20:
                                        ; implicit-def: $sgpr3
	v_mov_b32_e32 v25, s3
	s_branch .LBB0_2
.LBB0_21:
	s_or_b32 exec_lo, exec_lo, s44
	s_mov_b32 s2, 0
.LBB0_22:
	s_wait_alu 0xfffe
	s_and_not1_b32 vcc_lo, exec_lo, s2
	s_wait_alu 0xfffe
	s_cbranch_vccnz .LBB0_82
; %bb.23:
	v_cmp_lt_i64_e64 s2, s[28:29], 1
	s_and_b32 vcc_lo, exec_lo, s2
	s_wait_alu 0xfffe
	s_cbranch_vccnz .LBB0_82
; %bb.24:
	v_cvt_f32_f64_e32 v30, v[11:12]
	s_load_b32 s0, s[0:1], 0xd64
	v_dual_mov_b32 v2, 0 :: v_dual_lshlrev_b32 v1, 2, v0
	v_lshlrev_b32_e32 v28, 1, v0
	v_cmp_gt_i64_e64 s2, 0x10000, s[28:29]
	v_cvt_f32_f64_e32 v7, v[9:10]
	s_delay_alu instid0(VALU_DEP_4)
	v_mov_b32_e32 v29, v2
	v_add_co_u32 v8, s1, s26, v1
	s_wait_alu 0xf1ff
	v_add_co_ci_u32_e64 v9, null, s27, 0, s1
	v_add_co_u32 v10, s1, s20, v1
	s_wait_alu 0xf1ff
	v_add_co_ci_u32_e64 v11, null, s21, 0, s1
	;; [unrolled: 3-line block ×4, first 2 shown]
	s_and_b32 s1, s2, exec_lo
	v_cvt_f32_f64_e32 v3, s[8:9]
	s_cselect_b32 s9, s29, 0
	s_cselect_b32 s8, s28, 0x10000
	s_wait_kmcnt 0x0
	s_and_b32 s1, s0, 0xffff
	v_cvt_f32_f64_e32 v5, s[16:17]
	s_wait_alu 0xfffe
	v_mad_co_u64_u32 v[23:24], null, s1, 6, v[28:29]
	v_cvt_f32_f64_e32 v4, s[10:11]
	v_cvt_f32_f64_e32 v6, s[18:19]
	s_lshl_b32 s2, s1, 1
	s_mul_i32 s0, s1, 3
	s_cmp_lg_u64 s[12:13], 0
	v_mad_co_u64_u32 v[19:20], null, s1, 12, v[1:2]
	v_div_scale_f32 v16, null, v30, v30, v25
	v_div_scale_f32 v29, vcc_lo, v25, v30, v25
	s_cselect_b32 s18, -1, 0
	v_rcp_f32_e32 v26, v16
	v_xor_b32_e32 v27, 0x80000000, v16
	s_wait_alu 0xfffe
	v_add_co_u32 v16, s0, s0, v0
	s_lshl_b32 s19, s1, 3
	v_add_co_ci_u32_e64 v17, null, 0, 0, s0
	s_wait_alu 0xfffe
	v_add_co_u32 v31, s0, s19, v1
	s_wait_alu 0xf1ff
	v_add_co_ci_u32_e64 v32, null, 0, 0, s0
	v_fma_f32 v18, v27, v26, 1.0
	s_lshl_b32 s10, s1, 2
	v_add_co_u32 v36, s2, s2, v0
	v_add_co_u32 v1, s0, s26, v19
	s_delay_alu instid0(VALU_DEP_3) | instskip(SKIP_3) | instid1(VALU_DEP_3)
	v_fmac_f32_e32 v26, v18, v26
	s_wait_alu 0xf1ff
	v_add_co_ci_u32_e64 v37, null, 0, 0, s2
	v_add_co_ci_u32_e64 v18, null, s27, v20, s0
	v_mul_f32_e32 v33, v29, v26
	v_add_co_u32 v19, s0, s20, v19
	s_wait_alu 0xf1ff
	v_add_co_ci_u32_e64 v20, null, s21, v20, s0
	s_delay_alu instid0(VALU_DEP_3) | instskip(SKIP_2) | instid1(VALU_DEP_1)
	v_fma_f32 v21, v27, v33, v29
	s_mov_b32 s11, 0
	s_mov_b64 s[16:17], 0
	v_fmac_f32_e32 v33, v21, v26
	v_add_co_u32 v21, s0, s24, v23
	s_wait_alu 0xf1ff
	v_add_co_ci_u32_e64 v22, null, s25, v24, s0
	s_delay_alu instid0(VALU_DEP_3)
	v_fmac_f32_e32 v29, v27, v33
	v_add_co_u32 v23, s0, s22, v23
	s_wait_alu 0xf1ff
	v_add_co_ci_u32_e64 v24, null, s23, v24, s0
	s_wait_alu 0xfffd
	v_div_fmas_f32 v29, v29, v26, v33
	v_add_co_u32 v26, vcc_lo, s26, v31
	s_wait_alu 0xfffd
	v_add_co_ci_u32_e64 v27, null, s27, v32, vcc_lo
	s_wait_alu 0xfffe
	v_add_co_u32 v33, s3, s10, v28
	v_add_co_u32 v28, vcc_lo, s20, v31
	v_div_fixup_f32 v25, v29, v30, v25
	s_wait_alu 0xf1ff
	v_add_co_ci_u32_e64 v34, null, 0, 0, s3
	s_wait_alu 0xfffd
	v_add_co_ci_u32_e64 v29, null, s21, v32, vcc_lo
	v_add_co_u32 v32, s3, v0, s1
	v_add_co_u32 v30, vcc_lo, s24, v33
	s_wait_alu 0xfffd
	v_add_co_ci_u32_e64 v31, null, s25, v34, vcc_lo
	s_delay_alu instid0(VALU_DEP_3) | instskip(SKIP_3) | instid1(VALU_DEP_4)
	v_lshlrev_b32_e32 v40, 2, v32
	v_lshlrev_b32_e32 v44, 1, v32
	v_add_co_u32 v33, vcc_lo, s22, v33
	v_cmp_neq_f32_e64 s0, 0, v5
	v_add_co_u32 v38, s2, s26, v40
	s_wait_alu 0xf1ff
	v_add_co_ci_u32_e64 v39, null, s27, 0, s2
	v_add_co_u32 v40, s2, s20, v40
	s_wait_alu 0xf1ff
	v_add_co_ci_u32_e64 v41, null, s21, 0, s2
	;; [unrolled: 3-line block ×3, first 2 shown]
	v_add_co_u32 v44, s2, s22, v44
	s_wait_alu 0xfffd
	v_add_co_ci_u32_e64 v34, null, s23, v34, vcc_lo
	v_add_co_ci_u32_e64 v35, null, 0, 0, s3
	s_wait_alu 0xf1ff
	v_add_co_ci_u32_e64 v45, null, s23, 0, s2
	s_lshl_b32 s20, s1, 4
	s_branch .LBB0_27
.LBB0_25:                               ;   in Loop: Header=BB0_27 Depth=1
	s_wait_alu 0xfffe
	s_or_b32 exec_lo, exec_lo, s1
.LBB0_26:                               ;   in Loop: Header=BB0_27 Depth=1
	v_add_co_u32 v8, vcc_lo, v8, s20
	s_wait_alu 0xfffd
	v_add_co_ci_u32_e64 v9, null, 0, v9, vcc_lo
	v_add_co_u32 v10, vcc_lo, v10, s20
	s_wait_alu 0xfffd
	v_add_co_ci_u32_e64 v11, null, 0, v11, vcc_lo
	;; [unrolled: 3-line block ×13, first 2 shown]
	v_add_co_u32 v40, vcc_lo, v40, s20
	s_add_nc_u64 s[16:17], s[16:17], s[10:11]
	s_wait_alu 0xfffd
	v_add_co_ci_u32_e64 v41, null, 0, v41, vcc_lo
	v_add_co_u32 v42, vcc_lo, v42, s19
	s_wait_alu 0xfffe
	v_cmp_ge_i64_e64 s1, s[16:17], s[8:9]
	s_wait_alu 0xfffd
	v_add_co_ci_u32_e64 v43, null, 0, v43, vcc_lo
	v_add_co_u32 v44, vcc_lo, v44, s19
	s_wait_alu 0xfffd
	v_add_co_ci_u32_e64 v45, null, 0, v45, vcc_lo
	s_and_b32 vcc_lo, exec_lo, s1
	s_wait_alu 0xfffe
	s_cbranch_vccnz .LBB0_82
.LBB0_27:                               ; =>This Inner Loop Header: Depth=1
	v_add_co_u32 v46, s1, v0, s16
	s_wait_alu 0xf1ff
	v_add_co_ci_u32_e64 v47, null, 0, s17, s1
	v_dual_mov_b32 v55, 0 :: v_dual_mov_b32 v62, 0
	v_mov_b32_e32 v63, 0
	s_delay_alu instid0(VALU_DEP_3)
	v_cmp_gt_i64_e64 s1, s[8:9], v[46:47]
	v_mov_b32_e32 v46, 0
	s_and_saveexec_b32 s2, s1
	s_cbranch_execz .LBB0_29
; %bb.28:                               ;   in Loop: Header=BB0_27 Depth=1
	v_add_co_u32 v46, vcc_lo, v8, s6
	s_wait_alu 0xfffd
	v_add_co_ci_u32_e64 v47, null, s7, v9, vcc_lo
	v_add_co_u32 v48, vcc_lo, v12, s14
	s_wait_alu 0xfffd
	v_add_co_ci_u32_e64 v49, null, s15, v13, vcc_lo
	;; [unrolled: 3-line block ×4, first 2 shown]
	global_load_u16 v48, v[48:49], off
	global_load_u16 v49, v[50:51], off
	global_load_b32 v55, v[46:47], off
	global_load_b32 v46, v[52:53], off
	s_wait_loadcnt 0x3
	v_lshlrev_b32_e32 v62, 16, v48
	s_wait_loadcnt 0x2
	v_lshlrev_b32_e32 v63, 16, v49
.LBB0_29:                               ;   in Loop: Header=BB0_27 Depth=1
	s_wait_alu 0xfffe
	s_or_b32 exec_lo, exec_lo, s2
	v_add_co_u32 v47, vcc_lo, v32, s16
	s_wait_alu 0xfffd
	v_add_co_ci_u32_e64 v48, null, s17, v35, vcc_lo
	v_mov_b32_e32 v58, 0
	v_mov_b32_e32 v52, 0
	s_delay_alu instid0(VALU_DEP_3)
	v_cmp_gt_i64_e64 s2, s[8:9], v[47:48]
	v_mov_b32_e32 v47, 0
	s_and_saveexec_b32 s3, s2
	s_cbranch_execz .LBB0_31
; %bb.30:                               ;   in Loop: Header=BB0_27 Depth=1
	v_add_co_u32 v47, vcc_lo, v38, s6
	s_wait_alu 0xfffd
	v_add_co_ci_u32_e64 v48, null, s7, v39, vcc_lo
	v_add_co_u32 v49, vcc_lo, v40, s6
	s_wait_alu 0xfffd
	v_add_co_ci_u32_e64 v50, null, s7, v41, vcc_lo
	global_load_b32 v52, v[47:48], off
	global_load_b32 v47, v[49:50], off
.LBB0_31:                               ;   in Loop: Header=BB0_27 Depth=1
	s_wait_alu 0xfffe
	s_or_b32 exec_lo, exec_lo, s3
	v_mov_b32_e32 v60, 0
	s_and_saveexec_b32 s3, s2
	s_cbranch_execz .LBB0_33
; %bb.32:                               ;   in Loop: Header=BB0_27 Depth=1
	v_add_co_u32 v48, vcc_lo, v42, s14
	s_wait_alu 0xfffd
	v_add_co_ci_u32_e64 v49, null, s15, v43, vcc_lo
	v_add_co_u32 v50, vcc_lo, v44, s14
	s_wait_alu 0xfffd
	v_add_co_ci_u32_e64 v51, null, s15, v45, vcc_lo
	global_load_u16 v48, v[48:49], off
	global_load_u16 v49, v[50:51], off
	s_wait_loadcnt 0x1
	v_lshlrev_b32_e32 v58, 16, v48
	s_wait_loadcnt 0x0
	v_lshlrev_b32_e32 v60, 16, v49
.LBB0_33:                               ;   in Loop: Header=BB0_27 Depth=1
	s_wait_alu 0xfffe
	s_or_b32 exec_lo, exec_lo, s3
	v_add_co_u32 v48, vcc_lo, v36, s16
	s_wait_alu 0xfffd
	v_add_co_ci_u32_e64 v49, null, s17, v37, vcc_lo
	v_dual_mov_b32 v56, 0 :: v_dual_mov_b32 v51, 0
	s_delay_alu instid0(VALU_DEP_2)
	v_cmp_gt_i64_e64 s3, s[8:9], v[48:49]
	v_mov_b32_e32 v48, 0
	s_and_saveexec_b32 s4, s3
	s_cbranch_execz .LBB0_35
; %bb.34:                               ;   in Loop: Header=BB0_27 Depth=1
	v_add_co_u32 v48, vcc_lo, v26, s6
	s_wait_alu 0xfffd
	v_add_co_ci_u32_e64 v49, null, s7, v27, vcc_lo
	v_add_co_u32 v53, vcc_lo, v28, s6
	s_wait_alu 0xfffd
	v_add_co_ci_u32_e64 v54, null, s7, v29, vcc_lo
	global_load_b32 v51, v[48:49], off
	global_load_b32 v48, v[53:54], off
.LBB0_35:                               ;   in Loop: Header=BB0_27 Depth=1
	s_wait_alu 0xfffe
	s_or_b32 exec_lo, exec_lo, s4
	v_mov_b32_e32 v59, 0
	s_and_saveexec_b32 s4, s3
	s_cbranch_execz .LBB0_37
; %bb.36:                               ;   in Loop: Header=BB0_27 Depth=1
	v_add_co_u32 v49, vcc_lo, v30, s14
	s_wait_alu 0xfffd
	v_add_co_ci_u32_e64 v50, null, s15, v31, vcc_lo
	v_add_co_u32 v53, vcc_lo, v33, s14
	s_wait_alu 0xfffd
	v_add_co_ci_u32_e64 v54, null, s15, v34, vcc_lo
	global_load_u16 v49, v[49:50], off
	global_load_u16 v50, v[53:54], off
	s_wait_loadcnt 0x1
	v_lshlrev_b32_e32 v56, 16, v49
	s_wait_loadcnt 0x0
	v_lshlrev_b32_e32 v59, 16, v50
.LBB0_37:                               ;   in Loop: Header=BB0_27 Depth=1
	s_wait_alu 0xfffe
	s_or_b32 exec_lo, exec_lo, s4
	v_add_co_u32 v49, vcc_lo, v16, s16
	s_wait_alu 0xfffd
	v_add_co_ci_u32_e64 v50, null, s17, v17, vcc_lo
	v_mov_b32_e32 v53, 0
	s_delay_alu instid0(VALU_DEP_2)
	v_cmp_gt_i64_e64 s4, s[8:9], v[49:50]
	v_dual_mov_b32 v50, 0 :: v_dual_mov_b32 v49, 0
	s_and_saveexec_b32 s5, s4
	s_cbranch_execnz .LBB0_63
; %bb.38:                               ;   in Loop: Header=BB0_27 Depth=1
	s_wait_alu 0xfffe
	s_or_b32 exec_lo, exec_lo, s5
	v_mov_b32_e32 v57, 0
	s_and_saveexec_b32 s5, s4
	s_cbranch_execnz .LBB0_64
.LBB0_39:                               ;   in Loop: Header=BB0_27 Depth=1
	s_wait_alu 0xfffe
	s_or_b32 exec_lo, exec_lo, s5
	s_delay_alu instid0(SALU_CYCLE_1)
	s_and_not1_b32 vcc_lo, exec_lo, s18
	s_wait_alu 0xfffe
	s_cbranch_vccnz .LBB0_41
.LBB0_40:                               ;   in Loop: Header=BB0_27 Depth=1
	global_load_b32 v54, v2, s[12:13]
	s_wait_loadcnt 0x0
	v_div_scale_f32 v61, null, v54, v54, v46
	s_delay_alu instid0(VALU_DEP_1) | instskip(NEXT) | instid1(TRANS32_DEP_1)
	v_rcp_f32_e32 v64, v61
	v_fma_f32 v65, -v61, v64, 1.0
	s_delay_alu instid0(VALU_DEP_1) | instskip(SKIP_1) | instid1(VALU_DEP_1)
	v_fmac_f32_e32 v64, v65, v64
	v_div_scale_f32 v65, vcc_lo, v46, v54, v46
	v_mul_f32_e32 v66, v65, v64
	s_delay_alu instid0(VALU_DEP_1) | instskip(NEXT) | instid1(VALU_DEP_1)
	v_fma_f32 v67, -v61, v66, v65
	v_fmac_f32_e32 v66, v67, v64
	s_delay_alu instid0(VALU_DEP_1) | instskip(SKIP_1) | instid1(VALU_DEP_1)
	v_fma_f32 v61, -v61, v66, v65
	s_wait_alu 0xfffd
	v_div_fmas_f32 v61, v61, v64, v66
	s_delay_alu instid0(VALU_DEP_1)
	v_div_fixup_f32 v46, v61, v54, v46
.LBB0_41:                               ;   in Loop: Header=BB0_27 Depth=1
	s_and_not1_b32 vcc_lo, exec_lo, s18
	s_wait_alu 0xfffe
	s_cbranch_vccnz .LBB0_43
; %bb.42:                               ;   in Loop: Header=BB0_27 Depth=1
	global_load_b32 v54, v2, s[12:13]
	s_wait_loadcnt 0x0
	v_div_scale_f32 v61, null, v54, v54, v47
	s_delay_alu instid0(VALU_DEP_1) | instskip(NEXT) | instid1(TRANS32_DEP_1)
	v_rcp_f32_e32 v64, v61
	v_fma_f32 v65, -v61, v64, 1.0
	s_delay_alu instid0(VALU_DEP_1) | instskip(SKIP_1) | instid1(VALU_DEP_1)
	v_fmac_f32_e32 v64, v65, v64
	v_div_scale_f32 v65, vcc_lo, v47, v54, v47
	v_mul_f32_e32 v66, v65, v64
	s_delay_alu instid0(VALU_DEP_1) | instskip(NEXT) | instid1(VALU_DEP_1)
	v_fma_f32 v67, -v61, v66, v65
	v_fmac_f32_e32 v66, v67, v64
	s_delay_alu instid0(VALU_DEP_1) | instskip(SKIP_1) | instid1(VALU_DEP_1)
	v_fma_f32 v61, -v61, v66, v65
	s_wait_alu 0xfffd
	v_div_fmas_f32 v61, v61, v64, v66
	s_delay_alu instid0(VALU_DEP_1)
	v_div_fixup_f32 v47, v61, v54, v47
.LBB0_43:                               ;   in Loop: Header=BB0_27 Depth=1
	s_and_not1_b32 vcc_lo, exec_lo, s18
	s_wait_alu 0xfffe
	s_cbranch_vccnz .LBB0_45
; %bb.44:                               ;   in Loop: Header=BB0_27 Depth=1
	global_load_b32 v54, v2, s[12:13]
	s_wait_loadcnt 0x0
	v_div_scale_f32 v61, null, v54, v54, v48
	s_delay_alu instid0(VALU_DEP_1) | instskip(NEXT) | instid1(TRANS32_DEP_1)
	v_rcp_f32_e32 v64, v61
	v_fma_f32 v65, -v61, v64, 1.0
	s_delay_alu instid0(VALU_DEP_1) | instskip(SKIP_1) | instid1(VALU_DEP_1)
	v_fmac_f32_e32 v64, v65, v64
	v_div_scale_f32 v65, vcc_lo, v48, v54, v48
	v_mul_f32_e32 v66, v65, v64
	s_delay_alu instid0(VALU_DEP_1) | instskip(NEXT) | instid1(VALU_DEP_1)
	v_fma_f32 v67, -v61, v66, v65
	v_fmac_f32_e32 v66, v67, v64
	s_delay_alu instid0(VALU_DEP_1) | instskip(SKIP_1) | instid1(VALU_DEP_1)
	v_fma_f32 v61, -v61, v66, v65
	s_wait_alu 0xfffd
	v_div_fmas_f32 v61, v61, v64, v66
	s_delay_alu instid0(VALU_DEP_1)
	v_div_fixup_f32 v48, v61, v54, v48
.LBB0_45:                               ;   in Loop: Header=BB0_27 Depth=1
	;; [unrolled: 24-line block ×3, first 2 shown]
	s_wait_loadcnt 0x0
	v_cndmask_b32_e64 v54, v46, -v46, s33
	s_delay_alu instid0(VALU_DEP_1) | instskip(NEXT) | instid1(VALU_DEP_1)
	v_fma_f32 v61, v55, v5, v54
	v_cndmask_b32_e64 v54, v54, v61, s0
	s_delay_alu instid0(VALU_DEP_1) | instskip(SKIP_1) | instid1(VALU_DEP_2)
	v_mul_f32_e32 v64, v54, v54
	v_fma_f32 v61, -v3, v54, v54
	v_fma_f32 v54, -v4, v64, v64
	s_delay_alu instid0(VALU_DEP_1)
	v_dual_fmac_f32 v61, v3, v62 :: v_dual_fmac_f32 v54, v4, v63
	s_and_saveexec_b32 s21, s1
	s_cbranch_execz .LBB0_49
; %bb.48:                               ;   in Loop: Header=BB0_27 Depth=1
	s_delay_alu instid0(VALU_DEP_1) | instskip(SKIP_2) | instid1(VALU_DEP_2)
	v_mul_f32_e32 v62, 0x4f800000, v54
	v_cmp_gt_f32_e32 vcc_lo, 0xf800000, v54
	s_wait_alu 0xfffd
	v_cndmask_b32_e32 v62, v54, v62, vcc_lo
	s_delay_alu instid0(VALU_DEP_1) | instskip(NEXT) | instid1(TRANS32_DEP_1)
	v_sqrt_f32_e32 v63, v62
	v_add_nc_u32_e32 v64, -1, v63
	v_add_nc_u32_e32 v65, 1, v63
	s_delay_alu instid0(VALU_DEP_2) | instskip(NEXT) | instid1(VALU_DEP_2)
	v_fma_f32 v66, -v64, v63, v62
	v_fma_f32 v67, -v65, v63, v62
	s_delay_alu instid0(VALU_DEP_2) | instskip(SKIP_1) | instid1(VALU_DEP_1)
	v_cmp_ge_f32_e64 s5, 0, v66
	s_wait_alu 0xf1ff
	v_cndmask_b32_e64 v63, v63, v64, s5
	s_delay_alu instid0(VALU_DEP_3) | instskip(SKIP_1) | instid1(VALU_DEP_1)
	v_cmp_lt_f32_e64 s5, 0, v67
	s_wait_alu 0xf1ff
	v_cndmask_b32_e64 v63, v63, v65, s5
	s_delay_alu instid0(VALU_DEP_1) | instskip(NEXT) | instid1(VALU_DEP_1)
	v_mul_f32_e32 v64, 0x37800000, v63
	v_cndmask_b32_e32 v63, v63, v64, vcc_lo
	v_cmp_class_f32_e64 vcc_lo, v62, 0x260
	s_wait_alu 0xfffd
	s_delay_alu instid0(VALU_DEP_2) | instskip(NEXT) | instid1(VALU_DEP_1)
	v_cndmask_b32_e32 v62, v63, v62, vcc_lo
	v_div_scale_f32 v63, null, v7, v7, v62
	v_div_scale_f32 v66, vcc_lo, v62, v7, v62
	s_delay_alu instid0(VALU_DEP_2) | instskip(NEXT) | instid1(TRANS32_DEP_1)
	v_rcp_f32_e32 v64, v63
	v_fma_f32 v65, -v63, v64, 1.0
	s_delay_alu instid0(VALU_DEP_1) | instskip(NEXT) | instid1(VALU_DEP_1)
	v_fmac_f32_e32 v64, v65, v64
	v_mul_f32_e32 v65, v66, v64
	s_delay_alu instid0(VALU_DEP_1) | instskip(NEXT) | instid1(VALU_DEP_1)
	v_fma_f32 v67, -v63, v65, v66
	v_fmac_f32_e32 v65, v67, v64
	s_delay_alu instid0(VALU_DEP_1) | instskip(SKIP_1) | instid1(VALU_DEP_1)
	v_fma_f32 v63, -v63, v65, v66
	s_wait_alu 0xfffd
	v_div_fmas_f32 v63, v63, v64, v65
	s_delay_alu instid0(VALU_DEP_1) | instskip(NEXT) | instid1(VALU_DEP_1)
	v_div_fixup_f32 v62, v63, v7, v62
	v_dual_mul_f32 v63, v25, v61 :: v_dual_add_f32 v62, v62, v6
	s_delay_alu instid0(VALU_DEP_1) | instskip(SKIP_1) | instid1(VALU_DEP_2)
	v_div_scale_f32 v64, null, v62, v62, v63
	v_div_scale_f32 v67, vcc_lo, v63, v62, v63
	v_rcp_f32_e32 v65, v64
	s_delay_alu instid0(TRANS32_DEP_1) | instskip(NEXT) | instid1(VALU_DEP_1)
	v_fma_f32 v66, -v64, v65, 1.0
	v_fmac_f32_e32 v65, v66, v65
	s_delay_alu instid0(VALU_DEP_1) | instskip(NEXT) | instid1(VALU_DEP_1)
	v_mul_f32_e32 v66, v67, v65
	v_fma_f32 v68, -v64, v66, v67
	s_delay_alu instid0(VALU_DEP_1) | instskip(NEXT) | instid1(VALU_DEP_1)
	v_fmac_f32_e32 v66, v68, v65
	v_fma_f32 v64, -v64, v66, v67
	s_wait_alu 0xfffd
	s_delay_alu instid0(VALU_DEP_1) | instskip(NEXT) | instid1(VALU_DEP_1)
	v_div_fmas_f32 v64, v64, v65, v66
	v_div_fixup_f32 v62, v64, v62, v63
	s_delay_alu instid0(VALU_DEP_1)
	v_sub_f32_e32 v55, v55, v62
	v_add_co_u32 v62, vcc_lo, v8, s6
	s_wait_alu 0xfffd
	v_add_co_ci_u32_e64 v63, null, s7, v9, vcc_lo
	global_store_b32 v[62:63], v55, off
.LBB0_49:                               ;   in Loop: Header=BB0_27 Depth=1
	s_wait_alu 0xfffe
	s_or_b32 exec_lo, exec_lo, s21
	v_cndmask_b32_e64 v55, v47, -v47, s33
	s_delay_alu instid0(VALU_DEP_1) | instskip(NEXT) | instid1(VALU_DEP_1)
	v_fma_f32 v62, v52, v5, v55
	v_cndmask_b32_e64 v55, v55, v62, s0
	s_delay_alu instid0(VALU_DEP_1) | instskip(SKIP_1) | instid1(VALU_DEP_2)
	v_mul_f32_e32 v63, v55, v55
	v_fma_f32 v62, -v3, v55, v55
	v_fma_f32 v55, -v4, v63, v63
	s_delay_alu instid0(VALU_DEP_1)
	v_dual_fmac_f32 v62, v3, v58 :: v_dual_fmac_f32 v55, v4, v60
	s_and_saveexec_b32 s21, s2
	s_cbranch_execz .LBB0_51
; %bb.50:                               ;   in Loop: Header=BB0_27 Depth=1
	s_delay_alu instid0(VALU_DEP_1) | instskip(SKIP_2) | instid1(VALU_DEP_2)
	v_mul_f32_e32 v58, 0x4f800000, v55
	v_cmp_gt_f32_e32 vcc_lo, 0xf800000, v55
	s_wait_alu 0xfffd
	v_cndmask_b32_e32 v58, v55, v58, vcc_lo
	s_delay_alu instid0(VALU_DEP_1) | instskip(NEXT) | instid1(TRANS32_DEP_1)
	v_sqrt_f32_e32 v60, v58
	v_add_nc_u32_e32 v63, -1, v60
	v_add_nc_u32_e32 v64, 1, v60
	s_delay_alu instid0(VALU_DEP_2) | instskip(NEXT) | instid1(VALU_DEP_2)
	v_fma_f32 v65, -v63, v60, v58
	v_fma_f32 v66, -v64, v60, v58
	s_delay_alu instid0(VALU_DEP_2) | instskip(SKIP_1) | instid1(VALU_DEP_1)
	v_cmp_ge_f32_e64 s5, 0, v65
	s_wait_alu 0xf1ff
	v_cndmask_b32_e64 v60, v60, v63, s5
	s_delay_alu instid0(VALU_DEP_3) | instskip(SKIP_1) | instid1(VALU_DEP_1)
	v_cmp_lt_f32_e64 s5, 0, v66
	s_wait_alu 0xf1ff
	v_cndmask_b32_e64 v60, v60, v64, s5
	s_delay_alu instid0(VALU_DEP_1) | instskip(NEXT) | instid1(VALU_DEP_1)
	v_mul_f32_e32 v63, 0x37800000, v60
	v_cndmask_b32_e32 v60, v60, v63, vcc_lo
	v_cmp_class_f32_e64 vcc_lo, v58, 0x260
	s_wait_alu 0xfffd
	s_delay_alu instid0(VALU_DEP_2) | instskip(NEXT) | instid1(VALU_DEP_1)
	v_cndmask_b32_e32 v58, v60, v58, vcc_lo
	v_div_scale_f32 v60, null, v7, v7, v58
	v_div_scale_f32 v65, vcc_lo, v58, v7, v58
	s_delay_alu instid0(VALU_DEP_2) | instskip(NEXT) | instid1(TRANS32_DEP_1)
	v_rcp_f32_e32 v63, v60
	v_fma_f32 v64, -v60, v63, 1.0
	s_delay_alu instid0(VALU_DEP_1) | instskip(NEXT) | instid1(VALU_DEP_1)
	v_fmac_f32_e32 v63, v64, v63
	v_mul_f32_e32 v64, v65, v63
	s_delay_alu instid0(VALU_DEP_1) | instskip(NEXT) | instid1(VALU_DEP_1)
	v_fma_f32 v66, -v60, v64, v65
	v_fmac_f32_e32 v64, v66, v63
	s_delay_alu instid0(VALU_DEP_1) | instskip(SKIP_1) | instid1(VALU_DEP_1)
	v_fma_f32 v60, -v60, v64, v65
	s_wait_alu 0xfffd
	v_div_fmas_f32 v60, v60, v63, v64
	s_delay_alu instid0(VALU_DEP_1) | instskip(SKIP_1) | instid1(VALU_DEP_2)
	v_div_fixup_f32 v58, v60, v7, v58
	v_mul_f32_e32 v60, v25, v62
	v_add_f32_e32 v58, v58, v6
	s_delay_alu instid0(VALU_DEP_1) | instskip(SKIP_1) | instid1(VALU_DEP_2)
	v_div_scale_f32 v63, null, v58, v58, v60
	v_div_scale_f32 v66, vcc_lo, v60, v58, v60
	v_rcp_f32_e32 v64, v63
	s_delay_alu instid0(TRANS32_DEP_1) | instskip(NEXT) | instid1(VALU_DEP_1)
	v_fma_f32 v65, -v63, v64, 1.0
	v_fmac_f32_e32 v64, v65, v64
	s_delay_alu instid0(VALU_DEP_1) | instskip(NEXT) | instid1(VALU_DEP_1)
	v_mul_f32_e32 v65, v66, v64
	v_fma_f32 v67, -v63, v65, v66
	s_delay_alu instid0(VALU_DEP_1) | instskip(NEXT) | instid1(VALU_DEP_1)
	v_fmac_f32_e32 v65, v67, v64
	v_fma_f32 v63, -v63, v65, v66
	s_wait_alu 0xfffd
	s_delay_alu instid0(VALU_DEP_1) | instskip(NEXT) | instid1(VALU_DEP_1)
	v_div_fmas_f32 v63, v63, v64, v65
	v_div_fixup_f32 v58, v63, v58, v60
	v_add_co_u32 v63, vcc_lo, v38, s6
	s_wait_alu 0xfffd
	v_add_co_ci_u32_e64 v64, null, s7, v39, vcc_lo
	s_delay_alu instid0(VALU_DEP_3)
	v_sub_f32_e32 v52, v52, v58
	global_store_b32 v[63:64], v52, off
.LBB0_51:                               ;   in Loop: Header=BB0_27 Depth=1
	s_wait_alu 0xfffe
	s_or_b32 exec_lo, exec_lo, s21
	v_cndmask_b32_e64 v52, v48, -v48, s33
	s_delay_alu instid0(VALU_DEP_1) | instskip(NEXT) | instid1(VALU_DEP_1)
	v_fma_f32 v58, v51, v5, v52
	v_cndmask_b32_e64 v52, v52, v58, s0
	s_delay_alu instid0(VALU_DEP_1) | instskip(SKIP_1) | instid1(VALU_DEP_2)
	v_mul_f32_e32 v60, v52, v52
	v_fma_f32 v58, -v3, v52, v52
	v_fma_f32 v52, -v4, v60, v60
	s_delay_alu instid0(VALU_DEP_2) | instskip(NEXT) | instid1(VALU_DEP_2)
	v_fmac_f32_e32 v58, v3, v56
	v_fmac_f32_e32 v52, v4, v59
	s_and_saveexec_b32 s21, s3
	s_cbranch_execz .LBB0_53
; %bb.52:                               ;   in Loop: Header=BB0_27 Depth=1
	s_delay_alu instid0(VALU_DEP_1) | instskip(SKIP_2) | instid1(VALU_DEP_2)
	v_mul_f32_e32 v56, 0x4f800000, v52
	v_cmp_gt_f32_e32 vcc_lo, 0xf800000, v52
	s_wait_alu 0xfffd
	v_cndmask_b32_e32 v56, v52, v56, vcc_lo
	s_delay_alu instid0(VALU_DEP_1) | instskip(NEXT) | instid1(TRANS32_DEP_1)
	v_sqrt_f32_e32 v59, v56
	v_add_nc_u32_e32 v60, -1, v59
	v_add_nc_u32_e32 v63, 1, v59
	s_delay_alu instid0(VALU_DEP_2) | instskip(NEXT) | instid1(VALU_DEP_2)
	v_fma_f32 v64, -v60, v59, v56
	v_fma_f32 v65, -v63, v59, v56
	s_delay_alu instid0(VALU_DEP_2) | instskip(SKIP_1) | instid1(VALU_DEP_1)
	v_cmp_ge_f32_e64 s5, 0, v64
	s_wait_alu 0xf1ff
	v_cndmask_b32_e64 v59, v59, v60, s5
	s_delay_alu instid0(VALU_DEP_3) | instskip(SKIP_1) | instid1(VALU_DEP_1)
	v_cmp_lt_f32_e64 s5, 0, v65
	s_wait_alu 0xf1ff
	v_cndmask_b32_e64 v59, v59, v63, s5
	s_delay_alu instid0(VALU_DEP_1) | instskip(NEXT) | instid1(VALU_DEP_1)
	v_mul_f32_e32 v60, 0x37800000, v59
	v_cndmask_b32_e32 v59, v59, v60, vcc_lo
	v_cmp_class_f32_e64 vcc_lo, v56, 0x260
	s_wait_alu 0xfffd
	s_delay_alu instid0(VALU_DEP_2) | instskip(NEXT) | instid1(VALU_DEP_1)
	v_cndmask_b32_e32 v56, v59, v56, vcc_lo
	v_div_scale_f32 v59, null, v7, v7, v56
	v_div_scale_f32 v64, vcc_lo, v56, v7, v56
	s_delay_alu instid0(VALU_DEP_2) | instskip(NEXT) | instid1(TRANS32_DEP_1)
	v_rcp_f32_e32 v60, v59
	v_fma_f32 v63, -v59, v60, 1.0
	s_delay_alu instid0(VALU_DEP_1) | instskip(NEXT) | instid1(VALU_DEP_1)
	v_fmac_f32_e32 v60, v63, v60
	v_mul_f32_e32 v63, v64, v60
	s_delay_alu instid0(VALU_DEP_1) | instskip(NEXT) | instid1(VALU_DEP_1)
	v_fma_f32 v65, -v59, v63, v64
	v_fmac_f32_e32 v63, v65, v60
	s_delay_alu instid0(VALU_DEP_1) | instskip(SKIP_1) | instid1(VALU_DEP_1)
	v_fma_f32 v59, -v59, v63, v64
	s_wait_alu 0xfffd
	v_div_fmas_f32 v59, v59, v60, v63
	s_delay_alu instid0(VALU_DEP_1) | instskip(SKIP_1) | instid1(VALU_DEP_2)
	v_div_fixup_f32 v56, v59, v7, v56
	v_mul_f32_e32 v59, v25, v58
	v_add_f32_e32 v56, v56, v6
	s_delay_alu instid0(VALU_DEP_1) | instskip(SKIP_1) | instid1(VALU_DEP_2)
	v_div_scale_f32 v60, null, v56, v56, v59
	v_div_scale_f32 v65, vcc_lo, v59, v56, v59
	v_rcp_f32_e32 v63, v60
	s_delay_alu instid0(TRANS32_DEP_1) | instskip(NEXT) | instid1(VALU_DEP_1)
	v_fma_f32 v64, -v60, v63, 1.0
	v_fmac_f32_e32 v63, v64, v63
	s_delay_alu instid0(VALU_DEP_1) | instskip(NEXT) | instid1(VALU_DEP_1)
	v_mul_f32_e32 v64, v65, v63
	v_fma_f32 v66, -v60, v64, v65
	s_delay_alu instid0(VALU_DEP_1) | instskip(NEXT) | instid1(VALU_DEP_1)
	v_fmac_f32_e32 v64, v66, v63
	v_fma_f32 v60, -v60, v64, v65
	s_wait_alu 0xfffd
	s_delay_alu instid0(VALU_DEP_1) | instskip(NEXT) | instid1(VALU_DEP_1)
	v_div_fmas_f32 v60, v60, v63, v64
	v_div_fixup_f32 v56, v60, v56, v59
	v_add_co_u32 v59, vcc_lo, v26, s6
	s_wait_alu 0xfffd
	v_add_co_ci_u32_e64 v60, null, s7, v27, vcc_lo
	s_delay_alu instid0(VALU_DEP_3)
	v_sub_f32_e32 v51, v51, v56
	global_store_b32 v[59:60], v51, off
.LBB0_53:                               ;   in Loop: Header=BB0_27 Depth=1
	s_wait_alu 0xfffe
	s_or_b32 exec_lo, exec_lo, s21
	v_cndmask_b32_e64 v51, v49, -v49, s33
	s_delay_alu instid0(VALU_DEP_1) | instskip(NEXT) | instid1(VALU_DEP_1)
	v_fma_f32 v56, v50, v5, v51
	v_cndmask_b32_e64 v51, v51, v56, s0
	s_delay_alu instid0(VALU_DEP_1) | instskip(SKIP_1) | instid1(VALU_DEP_2)
	v_mul_f32_e32 v59, v51, v51
	v_fma_f32 v56, -v3, v51, v51
	v_fma_f32 v51, -v4, v59, v59
	s_delay_alu instid0(VALU_DEP_2) | instskip(NEXT) | instid1(VALU_DEP_2)
	v_fmac_f32_e32 v56, v3, v53
	v_fmac_f32_e32 v51, v4, v57
	s_and_saveexec_b32 s21, s4
	s_cbranch_execnz .LBB0_65
; %bb.54:                               ;   in Loop: Header=BB0_27 Depth=1
	s_wait_alu 0xfffe
	s_or_b32 exec_lo, exec_lo, s21
	s_and_saveexec_b32 s5, s1
	s_cbranch_execnz .LBB0_66
.LBB0_55:                               ;   in Loop: Header=BB0_27 Depth=1
	s_wait_alu 0xfffe
	s_or_b32 exec_lo, exec_lo, s5
	s_and_saveexec_b32 s5, s2
	s_cbranch_execnz .LBB0_67
.LBB0_56:                               ;   in Loop: Header=BB0_27 Depth=1
	s_wait_alu 0xfffe
	s_or_b32 exec_lo, exec_lo, s5
	s_and_saveexec_b32 s5, s3
	s_cbranch_execnz .LBB0_68
.LBB0_57:                               ;   in Loop: Header=BB0_27 Depth=1
	s_wait_alu 0xfffe
	s_or_b32 exec_lo, exec_lo, s5
	s_and_saveexec_b32 s5, s4
	s_cbranch_execnz .LBB0_69
.LBB0_58:                               ;   in Loop: Header=BB0_27 Depth=1
	s_wait_alu 0xfffe
	s_or_b32 exec_lo, exec_lo, s5
	s_and_saveexec_b32 s5, s1
	s_cbranch_execnz .LBB0_70
.LBB0_59:                               ;   in Loop: Header=BB0_27 Depth=1
	s_wait_alu 0xfffe
	s_or_b32 exec_lo, exec_lo, s5
	s_and_saveexec_b32 s5, s2
	s_cbranch_execnz .LBB0_71
.LBB0_60:                               ;   in Loop: Header=BB0_27 Depth=1
	s_wait_alu 0xfffe
	s_or_b32 exec_lo, exec_lo, s5
	s_and_saveexec_b32 s5, s3
	s_cbranch_execnz .LBB0_72
.LBB0_61:                               ;   in Loop: Header=BB0_27 Depth=1
	s_wait_alu 0xfffe
	s_or_b32 exec_lo, exec_lo, s5
	s_and_saveexec_b32 s5, s4
	s_cbranch_execnz .LBB0_73
.LBB0_62:                               ;   in Loop: Header=BB0_27 Depth=1
	s_wait_alu 0xfffe
	s_or_b32 exec_lo, exec_lo, s5
	s_delay_alu instid0(SALU_CYCLE_1)
	s_and_not1_b32 vcc_lo, exec_lo, s18
	s_wait_alu 0xfffe
	s_cbranch_vccz .LBB0_74
	s_branch .LBB0_26
.LBB0_63:                               ;   in Loop: Header=BB0_27 Depth=1
	v_add_co_u32 v49, vcc_lo, v1, s6
	s_wait_alu 0xfffd
	v_add_co_ci_u32_e64 v50, null, s7, v18, vcc_lo
	v_add_co_u32 v64, vcc_lo, v19, s6
	s_wait_alu 0xfffd
	v_add_co_ci_u32_e64 v65, null, s7, v20, vcc_lo
	global_load_b32 v50, v[49:50], off
	global_load_b32 v49, v[64:65], off
	s_wait_alu 0xfffe
	s_or_b32 exec_lo, exec_lo, s5
	v_mov_b32_e32 v57, 0
	s_and_saveexec_b32 s5, s4
	s_cbranch_execz .LBB0_39
.LBB0_64:                               ;   in Loop: Header=BB0_27 Depth=1
	v_add_co_u32 v53, vcc_lo, v21, s14
	s_wait_alu 0xfffd
	v_add_co_ci_u32_e64 v54, null, s15, v22, vcc_lo
	v_add_co_u32 v64, vcc_lo, v23, s14
	s_wait_alu 0xfffd
	v_add_co_ci_u32_e64 v65, null, s15, v24, vcc_lo
	global_load_u16 v53, v[53:54], off
	global_load_u16 v54, v[64:65], off
	s_wait_loadcnt 0x1
	v_lshlrev_b32_e32 v53, 16, v53
	s_wait_loadcnt 0x0
	v_lshlrev_b32_e32 v57, 16, v54
	s_wait_alu 0xfffe
	s_or_b32 exec_lo, exec_lo, s5
	s_delay_alu instid0(SALU_CYCLE_1)
	s_and_not1_b32 vcc_lo, exec_lo, s18
	s_wait_alu 0xfffe
	s_cbranch_vccz .LBB0_40
	s_branch .LBB0_41
.LBB0_65:                               ;   in Loop: Header=BB0_27 Depth=1
	s_delay_alu instid0(VALU_DEP_1) | instskip(SKIP_2) | instid1(VALU_DEP_2)
	v_mul_f32_e32 v53, 0x4f800000, v51
	v_cmp_gt_f32_e32 vcc_lo, 0xf800000, v51
	s_wait_alu 0xfffd
	v_cndmask_b32_e32 v53, v51, v53, vcc_lo
	s_delay_alu instid0(VALU_DEP_1) | instskip(NEXT) | instid1(TRANS32_DEP_1)
	v_sqrt_f32_e32 v57, v53
	v_add_nc_u32_e32 v59, -1, v57
	v_add_nc_u32_e32 v60, 1, v57
	s_delay_alu instid0(VALU_DEP_2) | instskip(NEXT) | instid1(VALU_DEP_2)
	v_fma_f32 v63, -v59, v57, v53
	v_fma_f32 v64, -v60, v57, v53
	s_delay_alu instid0(VALU_DEP_2) | instskip(SKIP_1) | instid1(VALU_DEP_1)
	v_cmp_ge_f32_e64 s5, 0, v63
	s_wait_alu 0xf1ff
	v_cndmask_b32_e64 v57, v57, v59, s5
	s_delay_alu instid0(VALU_DEP_3) | instskip(SKIP_1) | instid1(VALU_DEP_1)
	v_cmp_lt_f32_e64 s5, 0, v64
	s_wait_alu 0xf1ff
	v_cndmask_b32_e64 v57, v57, v60, s5
	s_delay_alu instid0(VALU_DEP_1) | instskip(NEXT) | instid1(VALU_DEP_1)
	v_mul_f32_e32 v59, 0x37800000, v57
	v_cndmask_b32_e32 v57, v57, v59, vcc_lo
	v_cmp_class_f32_e64 vcc_lo, v53, 0x260
	s_wait_alu 0xfffd
	s_delay_alu instid0(VALU_DEP_2) | instskip(NEXT) | instid1(VALU_DEP_1)
	v_cndmask_b32_e32 v53, v57, v53, vcc_lo
	v_div_scale_f32 v57, null, v7, v7, v53
	v_div_scale_f32 v63, vcc_lo, v53, v7, v53
	s_delay_alu instid0(VALU_DEP_2) | instskip(NEXT) | instid1(TRANS32_DEP_1)
	v_rcp_f32_e32 v59, v57
	v_fma_f32 v60, -v57, v59, 1.0
	s_delay_alu instid0(VALU_DEP_1) | instskip(NEXT) | instid1(VALU_DEP_1)
	v_fmac_f32_e32 v59, v60, v59
	v_mul_f32_e32 v60, v63, v59
	s_delay_alu instid0(VALU_DEP_1) | instskip(NEXT) | instid1(VALU_DEP_1)
	v_fma_f32 v64, -v57, v60, v63
	v_fmac_f32_e32 v60, v64, v59
	s_delay_alu instid0(VALU_DEP_1) | instskip(SKIP_1) | instid1(VALU_DEP_1)
	v_fma_f32 v57, -v57, v60, v63
	s_wait_alu 0xfffd
	v_div_fmas_f32 v57, v57, v59, v60
	s_delay_alu instid0(VALU_DEP_1) | instskip(SKIP_1) | instid1(VALU_DEP_2)
	v_div_fixup_f32 v53, v57, v7, v53
	v_mul_f32_e32 v57, v25, v56
	v_add_f32_e32 v53, v53, v6
	s_delay_alu instid0(VALU_DEP_1) | instskip(SKIP_1) | instid1(VALU_DEP_2)
	v_div_scale_f32 v59, null, v53, v53, v57
	v_div_scale_f32 v64, vcc_lo, v57, v53, v57
	v_rcp_f32_e32 v60, v59
	s_delay_alu instid0(TRANS32_DEP_1) | instskip(NEXT) | instid1(VALU_DEP_1)
	v_fma_f32 v63, -v59, v60, 1.0
	v_fmac_f32_e32 v60, v63, v60
	s_delay_alu instid0(VALU_DEP_1) | instskip(NEXT) | instid1(VALU_DEP_1)
	v_mul_f32_e32 v63, v64, v60
	v_fma_f32 v65, -v59, v63, v64
	s_delay_alu instid0(VALU_DEP_1) | instskip(NEXT) | instid1(VALU_DEP_1)
	v_fmac_f32_e32 v63, v65, v60
	v_fma_f32 v59, -v59, v63, v64
	s_wait_alu 0xfffd
	s_delay_alu instid0(VALU_DEP_1) | instskip(NEXT) | instid1(VALU_DEP_1)
	v_div_fmas_f32 v59, v59, v60, v63
	v_div_fixup_f32 v53, v59, v53, v57
	v_add_co_u32 v59, vcc_lo, v1, s6
	s_wait_alu 0xfffd
	v_add_co_ci_u32_e64 v60, null, s7, v18, vcc_lo
	s_delay_alu instid0(VALU_DEP_3)
	v_sub_f32_e32 v50, v50, v53
	global_store_b32 v[59:60], v50, off
	s_wait_alu 0xfffe
	s_or_b32 exec_lo, exec_lo, s21
	s_and_saveexec_b32 s5, s1
	s_cbranch_execz .LBB0_55
.LBB0_66:                               ;   in Loop: Header=BB0_27 Depth=1
	v_bfe_u32 v50, v61, 16, 1
	v_cmp_o_f32_e32 vcc_lo, v61, v61
	s_delay_alu instid0(VALU_DEP_2) | instskip(NEXT) | instid1(VALU_DEP_1)
	v_add3_u32 v50, v61, v50, 0x7fff
	v_lshrrev_b32_e32 v50, 16, v50
	s_wait_alu 0xfffd
	s_delay_alu instid0(VALU_DEP_1)
	v_cndmask_b32_e32 v50, 0x7fc0, v50, vcc_lo
	v_add_co_u32 v59, vcc_lo, v12, s14
	s_wait_alu 0xfffd
	v_add_co_ci_u32_e64 v60, null, s15, v13, vcc_lo
	global_store_b16 v[59:60], v50, off
	s_wait_alu 0xfffe
	s_or_b32 exec_lo, exec_lo, s5
	s_and_saveexec_b32 s5, s2
	s_cbranch_execz .LBB0_56
.LBB0_67:                               ;   in Loop: Header=BB0_27 Depth=1
	v_bfe_u32 v50, v62, 16, 1
	v_cmp_o_f32_e32 vcc_lo, v62, v62
	s_delay_alu instid0(VALU_DEP_2) | instskip(NEXT) | instid1(VALU_DEP_1)
	v_add3_u32 v50, v62, v50, 0x7fff
	v_lshrrev_b32_e32 v50, 16, v50
	s_wait_alu 0xfffd
	s_delay_alu instid0(VALU_DEP_1)
	v_cndmask_b32_e32 v50, 0x7fc0, v50, vcc_lo
	v_add_co_u32 v59, vcc_lo, v42, s14
	s_wait_alu 0xfffd
	v_add_co_ci_u32_e64 v60, null, s15, v43, vcc_lo
	global_store_b16 v[59:60], v50, off
	s_wait_alu 0xfffe
	s_or_b32 exec_lo, exec_lo, s5
	s_and_saveexec_b32 s5, s3
	s_cbranch_execz .LBB0_57
.LBB0_68:                               ;   in Loop: Header=BB0_27 Depth=1
	v_bfe_u32 v50, v58, 16, 1
	v_cmp_o_f32_e32 vcc_lo, v58, v58
	s_delay_alu instid0(VALU_DEP_2) | instskip(NEXT) | instid1(VALU_DEP_1)
	v_add3_u32 v50, v58, v50, 0x7fff
	v_lshrrev_b32_e32 v50, 16, v50
	s_wait_alu 0xfffd
	s_delay_alu instid0(VALU_DEP_1)
	v_cndmask_b32_e32 v50, 0x7fc0, v50, vcc_lo
	v_add_co_u32 v57, vcc_lo, v30, s14
	s_wait_alu 0xfffd
	v_add_co_ci_u32_e64 v58, null, s15, v31, vcc_lo
	global_store_b16 v[57:58], v50, off
	s_wait_alu 0xfffe
	s_or_b32 exec_lo, exec_lo, s5
	s_and_saveexec_b32 s5, s4
	s_cbranch_execz .LBB0_58
.LBB0_69:                               ;   in Loop: Header=BB0_27 Depth=1
	v_bfe_u32 v50, v56, 16, 1
	v_cmp_o_f32_e32 vcc_lo, v56, v56
	s_delay_alu instid0(VALU_DEP_2) | instskip(NEXT) | instid1(VALU_DEP_1)
	v_add3_u32 v50, v56, v50, 0x7fff
	v_lshrrev_b32_e32 v50, 16, v50
	s_wait_alu 0xfffd
	s_delay_alu instid0(VALU_DEP_1)
	v_cndmask_b32_e32 v50, 0x7fc0, v50, vcc_lo
	v_add_co_u32 v56, vcc_lo, v21, s14
	s_wait_alu 0xfffd
	v_add_co_ci_u32_e64 v57, null, s15, v22, vcc_lo
	global_store_b16 v[56:57], v50, off
	s_wait_alu 0xfffe
	s_or_b32 exec_lo, exec_lo, s5
	s_and_saveexec_b32 s5, s1
	s_cbranch_execz .LBB0_59
.LBB0_70:                               ;   in Loop: Header=BB0_27 Depth=1
	v_bfe_u32 v50, v54, 16, 1
	v_cmp_o_f32_e32 vcc_lo, v54, v54
	s_delay_alu instid0(VALU_DEP_2) | instskip(NEXT) | instid1(VALU_DEP_1)
	v_add3_u32 v50, v54, v50, 0x7fff
	v_lshrrev_b32_e32 v50, 16, v50
	s_wait_alu 0xfffd
	s_delay_alu instid0(VALU_DEP_1)
	v_cndmask_b32_e32 v50, 0x7fc0, v50, vcc_lo
	v_add_co_u32 v53, vcc_lo, v14, s14
	s_wait_alu 0xfffd
	v_add_co_ci_u32_e64 v54, null, s15, v15, vcc_lo
	global_store_b16 v[53:54], v50, off
	s_wait_alu 0xfffe
	s_or_b32 exec_lo, exec_lo, s5
	s_and_saveexec_b32 s5, s2
	s_cbranch_execz .LBB0_60
.LBB0_71:                               ;   in Loop: Header=BB0_27 Depth=1
	v_bfe_u32 v50, v55, 16, 1
	v_cmp_o_f32_e32 vcc_lo, v55, v55
	s_delay_alu instid0(VALU_DEP_2) | instskip(NEXT) | instid1(VALU_DEP_1)
	v_add3_u32 v50, v55, v50, 0x7fff
	v_lshrrev_b32_e32 v50, 16, v50
	s_wait_alu 0xfffd
	s_delay_alu instid0(VALU_DEP_1)
	v_cndmask_b32_e32 v50, 0x7fc0, v50, vcc_lo
	v_add_co_u32 v53, vcc_lo, v44, s14
	s_wait_alu 0xfffd
	v_add_co_ci_u32_e64 v54, null, s15, v45, vcc_lo
	global_store_b16 v[53:54], v50, off
	s_wait_alu 0xfffe
	s_or_b32 exec_lo, exec_lo, s5
	s_and_saveexec_b32 s5, s3
	s_cbranch_execz .LBB0_61
.LBB0_72:                               ;   in Loop: Header=BB0_27 Depth=1
	v_bfe_u32 v50, v52, 16, 1
	v_cmp_o_f32_e32 vcc_lo, v52, v52
	s_delay_alu instid0(VALU_DEP_2) | instskip(NEXT) | instid1(VALU_DEP_1)
	v_add3_u32 v50, v52, v50, 0x7fff
	v_lshrrev_b32_e32 v50, 16, v50
	s_wait_alu 0xfffd
	s_delay_alu instid0(VALU_DEP_1)
	v_cndmask_b32_e32 v50, 0x7fc0, v50, vcc_lo
	v_add_co_u32 v52, vcc_lo, v33, s14
	s_wait_alu 0xfffd
	v_add_co_ci_u32_e64 v53, null, s15, v34, vcc_lo
	global_store_b16 v[52:53], v50, off
	s_wait_alu 0xfffe
	s_or_b32 exec_lo, exec_lo, s5
	s_and_saveexec_b32 s5, s4
	s_cbranch_execz .LBB0_62
.LBB0_73:                               ;   in Loop: Header=BB0_27 Depth=1
	v_bfe_u32 v50, v51, 16, 1
	v_cmp_o_f32_e32 vcc_lo, v51, v51
	s_delay_alu instid0(VALU_DEP_2) | instskip(NEXT) | instid1(VALU_DEP_1)
	v_add3_u32 v50, v51, v50, 0x7fff
	v_lshrrev_b32_e32 v50, 16, v50
	s_wait_alu 0xfffd
	s_delay_alu instid0(VALU_DEP_1)
	v_cndmask_b32_e32 v52, 0x7fc0, v50, vcc_lo
	v_add_co_u32 v50, vcc_lo, v23, s14
	s_wait_alu 0xfffd
	v_add_co_ci_u32_e64 v51, null, s15, v24, vcc_lo
	global_store_b16 v[50:51], v52, off
	s_wait_alu 0xfffe
	s_or_b32 exec_lo, exec_lo, s5
	s_delay_alu instid0(SALU_CYCLE_1)
	s_and_not1_b32 vcc_lo, exec_lo, s18
	s_wait_alu 0xfffe
	s_cbranch_vccnz .LBB0_26
.LBB0_74:                               ;   in Loop: Header=BB0_27 Depth=1
	s_and_saveexec_b32 s5, s1
	s_cbranch_execnz .LBB0_78
; %bb.75:                               ;   in Loop: Header=BB0_27 Depth=1
	s_wait_alu 0xfffe
	s_or_b32 exec_lo, exec_lo, s5
	s_and_saveexec_b32 s1, s2
	s_cbranch_execnz .LBB0_79
.LBB0_76:                               ;   in Loop: Header=BB0_27 Depth=1
	s_wait_alu 0xfffe
	s_or_b32 exec_lo, exec_lo, s1
	s_and_saveexec_b32 s1, s3
	s_cbranch_execnz .LBB0_80
.LBB0_77:                               ;   in Loop: Header=BB0_27 Depth=1
	s_wait_alu 0xfffe
	s_or_b32 exec_lo, exec_lo, s1
	s_and_saveexec_b32 s1, s4
	s_cbranch_execz .LBB0_25
	s_branch .LBB0_81
.LBB0_78:                               ;   in Loop: Header=BB0_27 Depth=1
	v_add_co_u32 v50, vcc_lo, v10, s6
	s_wait_alu 0xfffd
	v_add_co_ci_u32_e64 v51, null, s7, v11, vcc_lo
	global_store_b32 v[50:51], v46, off
	s_wait_alu 0xfffe
	s_or_b32 exec_lo, exec_lo, s5
	s_and_saveexec_b32 s1, s2
	s_cbranch_execz .LBB0_76
.LBB0_79:                               ;   in Loop: Header=BB0_27 Depth=1
	v_add_co_u32 v50, vcc_lo, v40, s6
	s_wait_alu 0xfffd
	v_add_co_ci_u32_e64 v51, null, s7, v41, vcc_lo
	global_store_b32 v[50:51], v47, off
	s_wait_alu 0xfffe
	s_or_b32 exec_lo, exec_lo, s1
	s_and_saveexec_b32 s1, s3
	s_cbranch_execz .LBB0_77
.LBB0_80:                               ;   in Loop: Header=BB0_27 Depth=1
	v_add_co_u32 v46, vcc_lo, v28, s6
	s_wait_alu 0xfffd
	v_add_co_ci_u32_e64 v47, null, s7, v29, vcc_lo
	global_store_b32 v[46:47], v48, off
	s_wait_alu 0xfffe
	s_or_b32 exec_lo, exec_lo, s1
	s_and_saveexec_b32 s1, s4
	s_cbranch_execz .LBB0_25
.LBB0_81:                               ;   in Loop: Header=BB0_27 Depth=1
	v_add_co_u32 v46, vcc_lo, v19, s6
	s_wait_alu 0xfffd
	v_add_co_ci_u32_e64 v47, null, s7, v20, vcc_lo
	global_store_b32 v[46:47], v49, off
	s_branch .LBB0_25
.LBB0_82:
	s_endpgm
	.section	.rodata,"a",@progbits
	.p2align	6, 0x0
	.amdhsa_kernel _ZN2at6native12_GLOBAL__N_125multi_tensor_apply_kernelINS1_32FusedOptimizerTensorListMetadataILi4EEENS1_22FusedAdamMathFunctorMPIfffN3c108BFloat16ES7_fLi4ELNS0_9ADAM_MODEE0ELb0EEEJPKfdddddbSB_SB_EEEvT_T0_DpT1_
		.amdhsa_group_segment_fixed_size 0
		.amdhsa_private_segment_fixed_size 0
		.amdhsa_kernarg_size 3672
		.amdhsa_user_sgpr_count 2
		.amdhsa_user_sgpr_dispatch_ptr 0
		.amdhsa_user_sgpr_queue_ptr 0
		.amdhsa_user_sgpr_kernarg_segment_ptr 1
		.amdhsa_user_sgpr_dispatch_id 0
		.amdhsa_user_sgpr_private_segment_size 0
		.amdhsa_wavefront_size32 1
		.amdhsa_uses_dynamic_stack 0
		.amdhsa_enable_private_segment 0
		.amdhsa_system_sgpr_workgroup_id_x 1
		.amdhsa_system_sgpr_workgroup_id_y 0
		.amdhsa_system_sgpr_workgroup_id_z 0
		.amdhsa_system_sgpr_workgroup_info 0
		.amdhsa_system_vgpr_workitem_id 0
		.amdhsa_next_free_vgpr 69
		.amdhsa_next_free_sgpr 83
		.amdhsa_reserve_vcc 1
		.amdhsa_float_round_mode_32 0
		.amdhsa_float_round_mode_16_64 0
		.amdhsa_float_denorm_mode_32 3
		.amdhsa_float_denorm_mode_16_64 3
		.amdhsa_fp16_overflow 0
		.amdhsa_workgroup_processor_mode 1
		.amdhsa_memory_ordered 1
		.amdhsa_forward_progress 1
		.amdhsa_inst_pref_size 103
		.amdhsa_round_robin_scheduling 0
		.amdhsa_exception_fp_ieee_invalid_op 0
		.amdhsa_exception_fp_denorm_src 0
		.amdhsa_exception_fp_ieee_div_zero 0
		.amdhsa_exception_fp_ieee_overflow 0
		.amdhsa_exception_fp_ieee_underflow 0
		.amdhsa_exception_fp_ieee_inexact 0
		.amdhsa_exception_int_div_zero 0
	.end_amdhsa_kernel
	.section	.text._ZN2at6native12_GLOBAL__N_125multi_tensor_apply_kernelINS1_32FusedOptimizerTensorListMetadataILi4EEENS1_22FusedAdamMathFunctorMPIfffN3c108BFloat16ES7_fLi4ELNS0_9ADAM_MODEE0ELb0EEEJPKfdddddbSB_SB_EEEvT_T0_DpT1_,"axG",@progbits,_ZN2at6native12_GLOBAL__N_125multi_tensor_apply_kernelINS1_32FusedOptimizerTensorListMetadataILi4EEENS1_22FusedAdamMathFunctorMPIfffN3c108BFloat16ES7_fLi4ELNS0_9ADAM_MODEE0ELb0EEEJPKfdddddbSB_SB_EEEvT_T0_DpT1_,comdat
.Lfunc_end0:
	.size	_ZN2at6native12_GLOBAL__N_125multi_tensor_apply_kernelINS1_32FusedOptimizerTensorListMetadataILi4EEENS1_22FusedAdamMathFunctorMPIfffN3c108BFloat16ES7_fLi4ELNS0_9ADAM_MODEE0ELb0EEEJPKfdddddbSB_SB_EEEvT_T0_DpT1_, .Lfunc_end0-_ZN2at6native12_GLOBAL__N_125multi_tensor_apply_kernelINS1_32FusedOptimizerTensorListMetadataILi4EEENS1_22FusedAdamMathFunctorMPIfffN3c108BFloat16ES7_fLi4ELNS0_9ADAM_MODEE0ELb0EEEJPKfdddddbSB_SB_EEEvT_T0_DpT1_
                                        ; -- End function
	.set _ZN2at6native12_GLOBAL__N_125multi_tensor_apply_kernelINS1_32FusedOptimizerTensorListMetadataILi4EEENS1_22FusedAdamMathFunctorMPIfffN3c108BFloat16ES7_fLi4ELNS0_9ADAM_MODEE0ELb0EEEJPKfdddddbSB_SB_EEEvT_T0_DpT1_.num_vgpr, 69
	.set _ZN2at6native12_GLOBAL__N_125multi_tensor_apply_kernelINS1_32FusedOptimizerTensorListMetadataILi4EEENS1_22FusedAdamMathFunctorMPIfffN3c108BFloat16ES7_fLi4ELNS0_9ADAM_MODEE0ELb0EEEJPKfdddddbSB_SB_EEEvT_T0_DpT1_.num_agpr, 0
	.set _ZN2at6native12_GLOBAL__N_125multi_tensor_apply_kernelINS1_32FusedOptimizerTensorListMetadataILi4EEENS1_22FusedAdamMathFunctorMPIfffN3c108BFloat16ES7_fLi4ELNS0_9ADAM_MODEE0ELb0EEEJPKfdddddbSB_SB_EEEvT_T0_DpT1_.numbered_sgpr, 83
	.set _ZN2at6native12_GLOBAL__N_125multi_tensor_apply_kernelINS1_32FusedOptimizerTensorListMetadataILi4EEENS1_22FusedAdamMathFunctorMPIfffN3c108BFloat16ES7_fLi4ELNS0_9ADAM_MODEE0ELb0EEEJPKfdddddbSB_SB_EEEvT_T0_DpT1_.num_named_barrier, 0
	.set _ZN2at6native12_GLOBAL__N_125multi_tensor_apply_kernelINS1_32FusedOptimizerTensorListMetadataILi4EEENS1_22FusedAdamMathFunctorMPIfffN3c108BFloat16ES7_fLi4ELNS0_9ADAM_MODEE0ELb0EEEJPKfdddddbSB_SB_EEEvT_T0_DpT1_.private_seg_size, 0
	.set _ZN2at6native12_GLOBAL__N_125multi_tensor_apply_kernelINS1_32FusedOptimizerTensorListMetadataILi4EEENS1_22FusedAdamMathFunctorMPIfffN3c108BFloat16ES7_fLi4ELNS0_9ADAM_MODEE0ELb0EEEJPKfdddddbSB_SB_EEEvT_T0_DpT1_.uses_vcc, 1
	.set _ZN2at6native12_GLOBAL__N_125multi_tensor_apply_kernelINS1_32FusedOptimizerTensorListMetadataILi4EEENS1_22FusedAdamMathFunctorMPIfffN3c108BFloat16ES7_fLi4ELNS0_9ADAM_MODEE0ELb0EEEJPKfdddddbSB_SB_EEEvT_T0_DpT1_.uses_flat_scratch, 0
	.set _ZN2at6native12_GLOBAL__N_125multi_tensor_apply_kernelINS1_32FusedOptimizerTensorListMetadataILi4EEENS1_22FusedAdamMathFunctorMPIfffN3c108BFloat16ES7_fLi4ELNS0_9ADAM_MODEE0ELb0EEEJPKfdddddbSB_SB_EEEvT_T0_DpT1_.has_dyn_sized_stack, 0
	.set _ZN2at6native12_GLOBAL__N_125multi_tensor_apply_kernelINS1_32FusedOptimizerTensorListMetadataILi4EEENS1_22FusedAdamMathFunctorMPIfffN3c108BFloat16ES7_fLi4ELNS0_9ADAM_MODEE0ELb0EEEJPKfdddddbSB_SB_EEEvT_T0_DpT1_.has_recursion, 0
	.set _ZN2at6native12_GLOBAL__N_125multi_tensor_apply_kernelINS1_32FusedOptimizerTensorListMetadataILi4EEENS1_22FusedAdamMathFunctorMPIfffN3c108BFloat16ES7_fLi4ELNS0_9ADAM_MODEE0ELb0EEEJPKfdddddbSB_SB_EEEvT_T0_DpT1_.has_indirect_call, 0
	.section	.AMDGPU.csdata,"",@progbits
; Kernel info:
; codeLenInByte = 13164
; TotalNumSgprs: 85
; NumVgprs: 69
; ScratchSize: 0
; MemoryBound: 0
; FloatMode: 240
; IeeeMode: 1
; LDSByteSize: 0 bytes/workgroup (compile time only)
; SGPRBlocks: 0
; VGPRBlocks: 8
; NumSGPRsForWavesPerEU: 85
; NumVGPRsForWavesPerEU: 69
; Occupancy: 16
; WaveLimiterHint : 0
; COMPUTE_PGM_RSRC2:SCRATCH_EN: 0
; COMPUTE_PGM_RSRC2:USER_SGPR: 2
; COMPUTE_PGM_RSRC2:TRAP_HANDLER: 0
; COMPUTE_PGM_RSRC2:TGID_X_EN: 1
; COMPUTE_PGM_RSRC2:TGID_Y_EN: 0
; COMPUTE_PGM_RSRC2:TGID_Z_EN: 0
; COMPUTE_PGM_RSRC2:TIDIG_COMP_CNT: 0
	.section	.text._ZN2at6native12_GLOBAL__N_125multi_tensor_apply_kernelINS1_32FusedOptimizerTensorListMetadataILi4EEENS1_20FusedAdamMathFunctorIdLi4ELNS0_9ADAM_MODEE0ELb0EEEJPKfdddddbS9_S9_EEEvT_T0_DpT1_,"axG",@progbits,_ZN2at6native12_GLOBAL__N_125multi_tensor_apply_kernelINS1_32FusedOptimizerTensorListMetadataILi4EEENS1_20FusedAdamMathFunctorIdLi4ELNS0_9ADAM_MODEE0ELb0EEEJPKfdddddbS9_S9_EEEvT_T0_DpT1_,comdat
	.globl	_ZN2at6native12_GLOBAL__N_125multi_tensor_apply_kernelINS1_32FusedOptimizerTensorListMetadataILi4EEENS1_20FusedAdamMathFunctorIdLi4ELNS0_9ADAM_MODEE0ELb0EEEJPKfdddddbS9_S9_EEEvT_T0_DpT1_ ; -- Begin function _ZN2at6native12_GLOBAL__N_125multi_tensor_apply_kernelINS1_32FusedOptimizerTensorListMetadataILi4EEENS1_20FusedAdamMathFunctorIdLi4ELNS0_9ADAM_MODEE0ELb0EEEJPKfdddddbS9_S9_EEEvT_T0_DpT1_
	.p2align	8
	.type	_ZN2at6native12_GLOBAL__N_125multi_tensor_apply_kernelINS1_32FusedOptimizerTensorListMetadataILi4EEENS1_20FusedAdamMathFunctorIdLi4ELNS0_9ADAM_MODEE0ELb0EEEJPKfdddddbS9_S9_EEEvT_T0_DpT1_,@function
_ZN2at6native12_GLOBAL__N_125multi_tensor_apply_kernelINS1_32FusedOptimizerTensorListMetadataILi4EEENS1_20FusedAdamMathFunctorIdLi4ELNS0_9ADAM_MODEE0ELb0EEEJPKfdddddbS9_S9_EEEvT_T0_DpT1_: ; @_ZN2at6native12_GLOBAL__N_125multi_tensor_apply_kernelINS1_32FusedOptimizerTensorListMetadataILi4EEENS1_20FusedAdamMathFunctorIdLi4ELNS0_9ADAM_MODEE0ELb0EEEJPKfdddddbS9_S9_EEEvT_T0_DpT1_
; %bb.0:
	s_load_b256 s[4:11], s[0:1], 0xd10
	s_wait_kmcnt 0x0
	v_dual_mov_b32 v1, ttmp9 :: v_dual_mov_b32 v34, s7
	global_load_u8 v1, v1, s[0:1] offset:1728
	v_mov_b32_e32 v33, s6
	s_cmp_eq_u64 s[4:5], 0
	s_wait_loadcnt 0x0
	v_readfirstlane_b32 s3, v1
	s_cbranch_scc1 .LBB1_2
; %bb.1:
	s_load_b32 s2, s[4:5], 0x0
	s_wait_kmcnt 0x0
	v_cvt_f64_f32_e32 v[33:34], s2
.LBB1_2:
	s_load_b128 s[12:15], s[0:1], 0xd48
	s_wait_kmcnt 0x0
	s_cmp_eq_u64 s[14:15], 0
	s_cselect_b32 s2, -1, 0
	s_wait_alu 0xfffe
	s_and_b32 vcc_lo, exec_lo, s2
	s_cbranch_vccnz .LBB1_4
; %bb.3:
	s_load_b32 s2, s[14:15], 0x0
	s_wait_kmcnt 0x0
	s_cmp_neq_f32 s2, 1.0
	s_cselect_b32 s2, -1, 0
.LBB1_4:
	s_wait_alu 0xfffe
	s_and_not1_b32 vcc_lo, exec_lo, s2
	s_cbranch_vccnz .LBB1_82
; %bb.5:
	s_load_b32 s2, s[0:1], 0xd40
	v_cmp_neq_f64_e64 vcc_lo, s[8:9], 1.0
	s_mov_b32 s16, 0x55555555
	s_mov_b32 s17, 0x3fe55555
	;; [unrolled: 1-line block ×18, first 2 shown]
	s_wait_kmcnt 0x0
	s_bitcmp1_b32 s2, 0
	s_mov_b32 s38, 0x9999999c
	s_cselect_b32 s2, -1, 0
	s_and_b32 s3, s3, 0xff
	s_mov_b32 s39, 0x3fd99999
	s_wait_alu 0xfffe
	s_lshl_b32 s33, s3, 3
	s_clause 0x1
	s_load_b64 s[4:5], s[0:1], s33 offset:0x5a0
	s_load_b64 s[22:23], s[0:1], s33 offset:0x480
	s_mov_b32 s41, 0xbfe55555
	s_mov_b32 s40, s16
	;; [unrolled: 1-line block ×18, first 2 shown]
	s_wait_kmcnt 0x0
	s_load_b32 s3, s[4:5], 0x0
	s_mov_b32 s58, 0x623fde64
	s_mov_b32 s59, 0x3ec71dee
	s_mov_b32 s60, 0x7c89e6b0
	s_mov_b32 s61, 0x3efa0199
	s_mov_b32 s62, 0x14761f6e
	s_mov_b32 s63, 0x3f2a01a0
	s_mov_b32 s64, 0x1852b7b0
	s_mov_b32 s65, 0x3f56c16c
	s_mov_b32 s66, 0x11122322
	s_mov_b32 s67, 0x3f811111
	s_mov_b32 s68, 0x555502a1
	s_mov_b32 s69, 0x3fa55555
	s_mov_b32 s70, 0x55555511
	s_mov_b32 s71, 0x3fc55555
	s_mov_b32 s72, 11
	s_mov_b32 s73, 0x3fe00000
	s_mov_b32 s14, ttmp9
	s_wait_kmcnt 0x0
	v_cvt_f64_f32_e32 v[3:4], s3
	s_delay_alu instid0(VALU_DEP_1) | instskip(NEXT) | instid1(VALU_DEP_2)
	v_cndmask_b32_e32 v2, 0x3ff00000, v4, vcc_lo
	v_cndmask_b32_e32 v1, 0, v3, vcc_lo
	s_delay_alu instid0(VALU_DEP_1)
	v_cmp_neq_f64_e32 vcc_lo, 0, v[1:2]
	s_and_b32 s3, vcc_lo, exec_lo
	s_cselect_b32 s7, s9, 0x3ff00000
	s_cselect_b32 s6, s8, 0
	s_wait_alu 0xfffe
	v_frexp_mant_f64_e64 v[5:6], |s[6:7]|
	v_cmp_lt_f64_e64 s74, |s[6:7]|, 1.0
	v_cmp_neq_f64_e64 s75, |s[6:7]|, 1.0
	v_cmp_eq_f64_e64 s76, s[6:7], 0
	v_cmp_class_f64_e64 s77, s[6:7], 0x204
	v_cmp_gt_f64_e32 vcc_lo, s[16:17], v[5:6]
	s_wait_alu 0xfffd
	v_cndmask_b32_e64 v7, 0, 1, vcc_lo
	s_delay_alu instid0(VALU_DEP_1) | instskip(NEXT) | instid1(VALU_DEP_1)
	v_ldexp_f64 v[5:6], v[5:6], v7
	v_add_f64_e32 v[7:8], 1.0, v[5:6]
	v_add_f64_e32 v[13:14], -1.0, v[5:6]
	s_delay_alu instid0(VALU_DEP_2) | instskip(SKIP_1) | instid1(VALU_DEP_1)
	v_rcp_f64_e32 v[9:10], v[7:8]
	v_add_f64_e32 v[15:16], -1.0, v[7:8]
	v_add_f64_e64 v[5:6], v[5:6], -v[15:16]
	s_delay_alu instid0(TRANS32_DEP_1) | instskip(NEXT) | instid1(VALU_DEP_1)
	v_fma_f64 v[11:12], -v[7:8], v[9:10], 1.0
	v_fma_f64 v[9:10], v[11:12], v[9:10], v[9:10]
	s_delay_alu instid0(VALU_DEP_1) | instskip(NEXT) | instid1(VALU_DEP_1)
	v_fma_f64 v[11:12], -v[7:8], v[9:10], 1.0
	v_fma_f64 v[9:10], v[11:12], v[9:10], v[9:10]
	s_delay_alu instid0(VALU_DEP_1) | instskip(NEXT) | instid1(VALU_DEP_1)
	v_mul_f64_e32 v[11:12], v[13:14], v[9:10]
	v_mul_f64_e32 v[17:18], v[7:8], v[11:12]
	s_delay_alu instid0(VALU_DEP_1) | instskip(NEXT) | instid1(VALU_DEP_1)
	v_fma_f64 v[7:8], v[11:12], v[7:8], -v[17:18]
	v_fma_f64 v[5:6], v[11:12], v[5:6], v[7:8]
	s_delay_alu instid0(VALU_DEP_1) | instskip(NEXT) | instid1(VALU_DEP_1)
	v_add_f64_e32 v[7:8], v[17:18], v[5:6]
	v_add_f64_e64 v[15:16], v[13:14], -v[7:8]
	v_add_f64_e64 v[17:18], v[7:8], -v[17:18]
	s_delay_alu instid0(VALU_DEP_2) | instskip(NEXT) | instid1(VALU_DEP_2)
	v_add_f64_e64 v[13:14], v[13:14], -v[15:16]
	v_add_f64_e64 v[5:6], v[17:18], -v[5:6]
	s_delay_alu instid0(VALU_DEP_2) | instskip(NEXT) | instid1(VALU_DEP_1)
	v_add_f64_e64 v[7:8], v[13:14], -v[7:8]
	v_add_f64_e32 v[5:6], v[5:6], v[7:8]
	s_delay_alu instid0(VALU_DEP_1) | instskip(NEXT) | instid1(VALU_DEP_1)
	v_add_f64_e32 v[5:6], v[15:16], v[5:6]
	v_mul_f64_e32 v[5:6], v[9:10], v[5:6]
	s_delay_alu instid0(VALU_DEP_1) | instskip(NEXT) | instid1(VALU_DEP_1)
	v_add_f64_e32 v[7:8], v[11:12], v[5:6]
	v_add_f64_e64 v[9:10], v[7:8], -v[11:12]
	v_mul_f64_e32 v[11:12], v[7:8], v[7:8]
	s_delay_alu instid0(VALU_DEP_2) | instskip(NEXT) | instid1(VALU_DEP_2)
	v_add_f64_e64 v[5:6], v[5:6], -v[9:10]
	v_fma_f64 v[9:10], v[7:8], v[7:8], -v[11:12]
	s_delay_alu instid0(VALU_DEP_2) | instskip(NEXT) | instid1(VALU_DEP_1)
	v_add_f64_e32 v[13:14], v[5:6], v[5:6]
	v_fma_f64 v[9:10], v[7:8], v[13:14], v[9:10]
	s_delay_alu instid0(VALU_DEP_1) | instskip(NEXT) | instid1(VALU_DEP_1)
	v_add_f64_e32 v[13:14], v[11:12], v[9:10]
	v_fma_f64 v[15:16], v[13:14], s[20:21], s[18:19]
	v_add_f64_e64 v[11:12], v[13:14], -v[11:12]
	v_mul_f64_e32 v[21:22], v[7:8], v[13:14]
	s_delay_alu instid0(VALU_DEP_3) | instskip(NEXT) | instid1(VALU_DEP_3)
	v_fma_f64 v[15:16], v[13:14], v[15:16], s[24:25]
	v_add_f64_e64 v[9:10], v[9:10], -v[11:12]
	s_delay_alu instid0(VALU_DEP_2) | instskip(NEXT) | instid1(VALU_DEP_1)
	v_fma_f64 v[15:16], v[13:14], v[15:16], s[26:27]
	v_fma_f64 v[15:16], v[13:14], v[15:16], s[28:29]
	s_delay_alu instid0(VALU_DEP_1) | instskip(NEXT) | instid1(VALU_DEP_1)
	v_fma_f64 v[15:16], v[13:14], v[15:16], s[30:31]
	v_fma_f64 v[15:16], v[13:14], v[15:16], s[34:35]
	s_delay_alu instid0(VALU_DEP_1) | instskip(NEXT) | instid1(VALU_DEP_1)
	;; [unrolled: 3-line block ×3, first 2 shown]
	v_mul_f64_e32 v[17:18], v[13:14], v[15:16]
	v_fma_f64 v[11:12], v[13:14], v[15:16], -v[17:18]
	s_delay_alu instid0(VALU_DEP_1) | instskip(NEXT) | instid1(VALU_DEP_1)
	v_fma_f64 v[11:12], v[9:10], v[15:16], v[11:12]
	v_add_f64_e32 v[15:16], v[17:18], v[11:12]
	s_delay_alu instid0(VALU_DEP_1) | instskip(SKIP_1) | instid1(VALU_DEP_2)
	v_add_f64_e32 v[19:20], s[16:17], v[15:16]
	v_add_f64_e64 v[17:18], v[15:16], -v[17:18]
	v_add_f64_e32 v[23:24], s[40:41], v[19:20]
	s_delay_alu instid0(VALU_DEP_2) | instskip(SKIP_1) | instid1(VALU_DEP_3)
	v_add_f64_e64 v[11:12], v[11:12], -v[17:18]
	v_fma_f64 v[17:18], v[13:14], v[7:8], -v[21:22]
	v_add_f64_e64 v[15:16], v[15:16], -v[23:24]
	s_delay_alu instid0(VALU_DEP_3) | instskip(NEXT) | instid1(VALU_DEP_3)
	v_add_f64_e32 v[11:12], s[44:45], v[11:12]
	v_fma_f64 v[13:14], v[13:14], v[5:6], v[17:18]
	v_ldexp_f64 v[5:6], v[5:6], 1
	s_delay_alu instid0(VALU_DEP_3) | instskip(NEXT) | instid1(VALU_DEP_3)
	v_add_f64_e32 v[11:12], v[11:12], v[15:16]
	v_fma_f64 v[9:10], v[9:10], v[7:8], v[13:14]
	v_ldexp_f64 v[7:8], v[7:8], 1
	s_delay_alu instid0(VALU_DEP_3) | instskip(NEXT) | instid1(VALU_DEP_3)
	v_add_f64_e32 v[13:14], v[19:20], v[11:12]
	v_add_f64_e32 v[15:16], v[21:22], v[9:10]
	s_delay_alu instid0(VALU_DEP_2) | instskip(NEXT) | instid1(VALU_DEP_2)
	v_add_f64_e64 v[17:18], v[19:20], -v[13:14]
	v_mul_f64_e32 v[19:20], v[15:16], v[13:14]
	v_add_f64_e64 v[21:22], v[15:16], -v[21:22]
	s_delay_alu instid0(VALU_DEP_3) | instskip(NEXT) | instid1(VALU_DEP_3)
	v_add_f64_e32 v[11:12], v[11:12], v[17:18]
	v_fma_f64 v[17:18], v[15:16], v[13:14], -v[19:20]
	s_delay_alu instid0(VALU_DEP_3) | instskip(NEXT) | instid1(VALU_DEP_2)
	v_add_f64_e64 v[9:10], v[9:10], -v[21:22]
	v_fma_f64 v[11:12], v[15:16], v[11:12], v[17:18]
	s_delay_alu instid0(VALU_DEP_1) | instskip(SKIP_1) | instid1(VALU_DEP_2)
	v_fma_f64 v[9:10], v[9:10], v[13:14], v[11:12]
	v_frexp_exp_i32_f64_e32 v13, s[6:7]
	v_add_f64_e32 v[11:12], v[19:20], v[9:10]
	s_delay_alu instid0(VALU_DEP_2) | instskip(NEXT) | instid1(VALU_DEP_1)
	v_subrev_co_ci_u32_e64 v13, null, 0, v13, vcc_lo
	v_cvt_f64_i32_e32 v[13:14], v13
	s_delay_alu instid0(VALU_DEP_3) | instskip(SKIP_1) | instid1(VALU_DEP_3)
	v_add_f64_e32 v[15:16], v[7:8], v[11:12]
	v_add_f64_e64 v[17:18], v[11:12], -v[19:20]
	v_mul_f64_e32 v[19:20], s[42:43], v[13:14]
	s_delay_alu instid0(VALU_DEP_3) | instskip(NEXT) | instid1(VALU_DEP_3)
	v_add_f64_e64 v[7:8], v[15:16], -v[7:8]
	v_add_f64_e64 v[9:10], v[9:10], -v[17:18]
	s_delay_alu instid0(VALU_DEP_3) | instskip(NEXT) | instid1(VALU_DEP_3)
	v_fma_f64 v[17:18], v[13:14], s[42:43], -v[19:20]
	v_add_f64_e64 v[7:8], v[11:12], -v[7:8]
	s_delay_alu instid0(VALU_DEP_3) | instskip(NEXT) | instid1(VALU_DEP_3)
	v_add_f64_e32 v[5:6], v[5:6], v[9:10]
	v_fma_f64 v[9:10], v[13:14], s[46:47], v[17:18]
	s_delay_alu instid0(VALU_DEP_2) | instskip(NEXT) | instid1(VALU_DEP_2)
	v_add_f64_e32 v[5:6], v[5:6], v[7:8]
	v_add_f64_e32 v[7:8], v[19:20], v[9:10]
	s_delay_alu instid0(VALU_DEP_2) | instskip(NEXT) | instid1(VALU_DEP_2)
	v_add_f64_e32 v[11:12], v[15:16], v[5:6]
	v_add_f64_e64 v[19:20], v[7:8], -v[19:20]
	s_delay_alu instid0(VALU_DEP_2) | instskip(SKIP_1) | instid1(VALU_DEP_3)
	v_add_f64_e32 v[13:14], v[7:8], v[11:12]
	v_add_f64_e64 v[15:16], v[11:12], -v[15:16]
	v_add_f64_e64 v[9:10], v[9:10], -v[19:20]
	s_delay_alu instid0(VALU_DEP_3) | instskip(NEXT) | instid1(VALU_DEP_3)
	v_add_f64_e64 v[17:18], v[13:14], -v[7:8]
	v_add_f64_e64 v[5:6], v[5:6], -v[15:16]
	s_delay_alu instid0(VALU_DEP_2) | instskip(SKIP_1) | instid1(VALU_DEP_3)
	v_add_f64_e64 v[21:22], v[13:14], -v[17:18]
	v_add_f64_e64 v[11:12], v[11:12], -v[17:18]
	v_add_f64_e32 v[15:16], v[9:10], v[5:6]
	s_delay_alu instid0(VALU_DEP_3) | instskip(NEXT) | instid1(VALU_DEP_1)
	v_add_f64_e64 v[7:8], v[7:8], -v[21:22]
	v_add_f64_e32 v[7:8], v[11:12], v[7:8]
	s_delay_alu instid0(VALU_DEP_3) | instskip(NEXT) | instid1(VALU_DEP_2)
	v_add_f64_e64 v[11:12], v[15:16], -v[9:10]
	v_add_f64_e32 v[7:8], v[15:16], v[7:8]
	s_delay_alu instid0(VALU_DEP_2) | instskip(SKIP_1) | instid1(VALU_DEP_3)
	v_add_f64_e64 v[15:16], v[15:16], -v[11:12]
	v_add_f64_e64 v[5:6], v[5:6], -v[11:12]
	v_add_f64_e32 v[17:18], v[13:14], v[7:8]
	s_delay_alu instid0(VALU_DEP_3) | instskip(NEXT) | instid1(VALU_DEP_2)
	v_add_f64_e64 v[9:10], v[9:10], -v[15:16]
	v_add_f64_e64 v[11:12], v[17:18], -v[13:14]
	s_delay_alu instid0(VALU_DEP_2) | instskip(NEXT) | instid1(VALU_DEP_2)
	v_add_f64_e32 v[5:6], v[5:6], v[9:10]
	v_add_f64_e64 v[7:8], v[7:8], -v[11:12]
	s_delay_alu instid0(VALU_DEP_1) | instskip(NEXT) | instid1(VALU_DEP_1)
	v_add_f64_e32 v[5:6], v[5:6], v[7:8]
	v_add_f64_e32 v[7:8], v[17:18], v[5:6]
	s_delay_alu instid0(VALU_DEP_1) | instskip(SKIP_1) | instid1(VALU_DEP_2)
	v_add_f64_e64 v[9:10], v[7:8], -v[17:18]
	v_mul_f64_e32 v[11:12], v[1:2], v[7:8]
	v_add_f64_e64 v[5:6], v[5:6], -v[9:10]
	s_delay_alu instid0(VALU_DEP_2) | instskip(SKIP_1) | instid1(VALU_DEP_2)
	v_fma_f64 v[7:8], v[1:2], v[7:8], -v[11:12]
	v_cmp_class_f64_e64 vcc_lo, v[11:12], 0x204
	v_fma_f64 v[5:6], v[1:2], v[5:6], v[7:8]
	s_delay_alu instid0(VALU_DEP_1) | instskip(SKIP_1) | instid1(VALU_DEP_1)
	v_add_f64_e32 v[7:8], v[11:12], v[5:6]
	s_wait_alu 0xfffd
	v_dual_cndmask_b32 v10, v8, v12 :: v_dual_cndmask_b32 v9, v7, v11
	v_add_f64_e64 v[7:8], v[7:8], -v[11:12]
	v_cmp_neq_f64_e64 s15, v[1:2], |v[1:2]|
	s_delay_alu instid0(VALU_DEP_3) | instskip(NEXT) | instid1(VALU_DEP_3)
	v_cmp_neq_f64_e64 vcc_lo, 0x7ff00000, |v[9:10]|
	v_add_f64_e64 v[5:6], v[5:6], -v[7:8]
	v_trunc_f64_e32 v[7:8], v[1:2]
	s_wait_alu 0xfffd
	s_delay_alu instid0(VALU_DEP_2) | instskip(SKIP_4) | instid1(VALU_DEP_4)
	v_cndmask_b32_e32 v6, 0, v6, vcc_lo
	v_mul_f64_e32 v[13:14], s[48:49], v[9:10]
	v_cmp_nlt_f64_e64 s3, 0x40900000, v[9:10]
	v_cmp_ngt_f64_e64 s4, 0xc090cc00, v[9:10]
	v_cndmask_b32_e32 v5, 0, v5, vcc_lo
	v_rndne_f64_e32 v[13:14], v[13:14]
	s_and_b32 vcc_lo, s4, s3
	s_delay_alu instid0(VALU_DEP_1) | instskip(SKIP_1) | instid1(VALU_DEP_2)
	v_fma_f64 v[15:16], v[13:14], s[50:51], v[9:10]
	v_cvt_i32_f64_e32 v19, v[13:14]
	v_fma_f64 v[15:16], v[13:14], s[52:53], v[15:16]
	s_delay_alu instid0(VALU_DEP_1) | instskip(NEXT) | instid1(VALU_DEP_1)
	v_fma_f64 v[17:18], v[15:16], s[56:57], s[54:55]
	v_fma_f64 v[17:18], v[15:16], v[17:18], s[58:59]
	s_delay_alu instid0(VALU_DEP_1) | instskip(NEXT) | instid1(VALU_DEP_1)
	v_fma_f64 v[17:18], v[15:16], v[17:18], s[60:61]
	;; [unrolled: 3-line block ×5, first 2 shown]
	v_fma_f64 v[17:18], v[15:16], v[17:18], 1.0
	s_delay_alu instid0(VALU_DEP_1) | instskip(NEXT) | instid1(VALU_DEP_1)
	v_fma_f64 v[13:14], v[15:16], v[17:18], 1.0
	v_ldexp_f64 v[11:12], v[13:14], v19
	v_mul_f64_e32 v[13:14], 0.5, v[1:2]
	s_delay_alu instid0(VALU_DEP_2) | instskip(NEXT) | instid1(VALU_DEP_2)
	v_cndmask_b32_e64 v12, 0x7ff00000, v12, s3
	v_trunc_f64_e32 v[9:10], v[13:14]
	s_wait_alu 0xfffe
	s_delay_alu instid0(VALU_DEP_4) | instskip(SKIP_2) | instid1(VALU_DEP_1)
	v_cndmask_b32_e32 v11, 0, v11, vcc_lo
	v_cmp_eq_f64_e32 vcc_lo, v[7:8], v[1:2]
	v_cndmask_b32_e64 v12, 0, v12, s4
	v_fma_f64 v[5:6], v[11:12], v[5:6], v[11:12]
	v_cmp_class_f64_e64 s4, v[11:12], 0x204
	v_cmp_neq_f64_e64 s3, v[9:10], v[13:14]
	s_wait_alu 0xf1ff
	s_delay_alu instid0(VALU_DEP_2) | instskip(NEXT) | instid1(VALU_DEP_4)
	v_cndmask_b32_e64 v6, v6, v12, s4
	v_cndmask_b32_e64 v5, v5, v11, s4
	v_cmp_gt_f64_e64 s4, 0, v[1:2]
	s_wait_alu 0xfffd
	s_delay_alu instid0(VALU_DEP_2)
	v_cndmask_b32_e32 v8, 0, v5, vcc_lo
	s_and_b32 s5, vcc_lo, s3
	s_wait_alu 0xfffe
	s_and_b32 s3, s5, exec_lo
	s_cselect_b32 s3, s7, 0x3ff00000
	s_xor_b32 s15, s15, s74
	s_wait_alu 0xfffe
	v_bfi_b32 v6, 0x7fffffff, v6, s3
	v_cmp_neq_f64_e64 s3, s[10:11], 1.0
	s_delay_alu instid0(VALU_DEP_2) | instskip(SKIP_2) | instid1(VALU_DEP_3)
	v_cndmask_b32_e32 v7, 0x7ff80000, v6, vcc_lo
	v_cmp_lt_f64_e64 vcc_lo, s[6:7], 0
	s_wait_alu 0xf1ff
	v_cndmask_b32_e64 v4, 0x3ff00000, v4, s3
	v_cndmask_b32_e64 v3, 0, v3, s3
	s_and_b32 s3, s15, exec_lo
	s_cselect_b32 s3, 0, 0x7ff00000
	s_and_b32 s15, s75, exec_lo
	v_cmp_class_f64_e64 s15, v[1:2], 0x204
	s_wait_alu 0xfffd
	v_dual_cndmask_b32 v26, v5, v8 :: v_dual_cndmask_b32 v5, v6, v7
	v_cmp_neq_f64_e32 vcc_lo, 0, v[3:4]
	s_wait_alu 0xfffe
	s_cselect_b32 s3, s3, 0x3ff00000
	s_xor_b32 s4, s4, s76
	s_wait_alu 0xfffe
	v_cndmask_b32_e64 v5, v5, s3, s15
	s_or_b32 s3, s76, s77
	s_and_b32 s4, s4, exec_lo
	s_cselect_b32 s4, 0, 0x7ff00000
	s_and_b32 s5, s5, exec_lo
	s_cselect_b32 s5, s7, 0
	s_wait_alu 0xfffe
	v_mov_b32_e32 v6, s5
	s_or_b32 s5, s3, s15
	s_delay_alu instid0(VALU_DEP_1) | instskip(NEXT) | instid1(VALU_DEP_1)
	v_bfi_b32 v6, 0x7fffffff, s4, v6
	v_cndmask_b32_e64 v5, v5, v6, s3
	s_and_b32 s3, vcc_lo, exec_lo
	s_cselect_b32 s75, s11, 0x3ff00000
	s_cselect_b32 s74, s10, 0
	s_delay_alu instid0(SALU_CYCLE_1) | instskip(NEXT) | instid1(VALU_DEP_1)
	v_frexp_mant_f64_e64 v[6:7], |s[74:75]|
	v_cmp_gt_f64_e32 vcc_lo, s[16:17], v[6:7]
	s_wait_alu 0xfffd
	v_cndmask_b32_e64 v8, 0, 1, vcc_lo
	s_delay_alu instid0(VALU_DEP_1) | instskip(NEXT) | instid1(VALU_DEP_1)
	v_ldexp_f64 v[6:7], v[6:7], v8
	v_add_f64_e32 v[8:9], 1.0, v[6:7]
	v_add_f64_e32 v[14:15], -1.0, v[6:7]
	s_delay_alu instid0(VALU_DEP_2) | instskip(SKIP_1) | instid1(VALU_DEP_1)
	v_rcp_f64_e32 v[10:11], v[8:9]
	v_add_f64_e32 v[16:17], -1.0, v[8:9]
	v_add_f64_e64 v[6:7], v[6:7], -v[16:17]
	s_delay_alu instid0(TRANS32_DEP_1) | instskip(NEXT) | instid1(VALU_DEP_1)
	v_fma_f64 v[12:13], -v[8:9], v[10:11], 1.0
	v_fma_f64 v[10:11], v[12:13], v[10:11], v[10:11]
	s_delay_alu instid0(VALU_DEP_1) | instskip(NEXT) | instid1(VALU_DEP_1)
	v_fma_f64 v[12:13], -v[8:9], v[10:11], 1.0
	v_fma_f64 v[10:11], v[12:13], v[10:11], v[10:11]
	s_delay_alu instid0(VALU_DEP_1) | instskip(NEXT) | instid1(VALU_DEP_1)
	v_mul_f64_e32 v[12:13], v[14:15], v[10:11]
	v_mul_f64_e32 v[18:19], v[8:9], v[12:13]
	s_delay_alu instid0(VALU_DEP_1) | instskip(NEXT) | instid1(VALU_DEP_1)
	v_fma_f64 v[8:9], v[12:13], v[8:9], -v[18:19]
	v_fma_f64 v[6:7], v[12:13], v[6:7], v[8:9]
	s_delay_alu instid0(VALU_DEP_1) | instskip(NEXT) | instid1(VALU_DEP_1)
	v_add_f64_e32 v[8:9], v[18:19], v[6:7]
	v_add_f64_e64 v[16:17], v[14:15], -v[8:9]
	v_add_f64_e64 v[18:19], v[8:9], -v[18:19]
	s_delay_alu instid0(VALU_DEP_2) | instskip(NEXT) | instid1(VALU_DEP_2)
	v_add_f64_e64 v[14:15], v[14:15], -v[16:17]
	v_add_f64_e64 v[6:7], v[18:19], -v[6:7]
	s_delay_alu instid0(VALU_DEP_2) | instskip(NEXT) | instid1(VALU_DEP_1)
	v_add_f64_e64 v[8:9], v[14:15], -v[8:9]
	v_add_f64_e32 v[6:7], v[6:7], v[8:9]
	s_delay_alu instid0(VALU_DEP_1) | instskip(NEXT) | instid1(VALU_DEP_1)
	v_add_f64_e32 v[6:7], v[16:17], v[6:7]
	v_mul_f64_e32 v[6:7], v[10:11], v[6:7]
	s_delay_alu instid0(VALU_DEP_1) | instskip(NEXT) | instid1(VALU_DEP_1)
	v_add_f64_e32 v[8:9], v[12:13], v[6:7]
	v_add_f64_e64 v[10:11], v[8:9], -v[12:13]
	v_mul_f64_e32 v[12:13], v[8:9], v[8:9]
	s_delay_alu instid0(VALU_DEP_2) | instskip(NEXT) | instid1(VALU_DEP_2)
	v_add_f64_e64 v[6:7], v[6:7], -v[10:11]
	v_fma_f64 v[10:11], v[8:9], v[8:9], -v[12:13]
	s_delay_alu instid0(VALU_DEP_2) | instskip(NEXT) | instid1(VALU_DEP_1)
	v_add_f64_e32 v[14:15], v[6:7], v[6:7]
	v_fma_f64 v[10:11], v[8:9], v[14:15], v[10:11]
	s_delay_alu instid0(VALU_DEP_1) | instskip(NEXT) | instid1(VALU_DEP_1)
	v_add_f64_e32 v[14:15], v[12:13], v[10:11]
	v_fma_f64 v[16:17], v[14:15], s[20:21], s[18:19]
	v_add_f64_e64 v[12:13], v[14:15], -v[12:13]
	v_mul_f64_e32 v[22:23], v[8:9], v[14:15]
	v_cmp_eq_f64_e64 s18, s[74:75], 0
	v_cmp_class_f64_e64 s19, s[74:75], 0x204
	v_fma_f64 v[16:17], v[14:15], v[16:17], s[24:25]
	v_add_f64_e64 v[10:11], v[10:11], -v[12:13]
	s_delay_alu instid0(VALU_DEP_2) | instskip(NEXT) | instid1(VALU_DEP_1)
	v_fma_f64 v[16:17], v[14:15], v[16:17], s[26:27]
	v_fma_f64 v[16:17], v[14:15], v[16:17], s[28:29]
	s_delay_alu instid0(VALU_DEP_1) | instskip(NEXT) | instid1(VALU_DEP_1)
	v_fma_f64 v[16:17], v[14:15], v[16:17], s[30:31]
	v_fma_f64 v[16:17], v[14:15], v[16:17], s[34:35]
	s_delay_alu instid0(VALU_DEP_1) | instskip(NEXT) | instid1(VALU_DEP_1)
	;; [unrolled: 3-line block ×3, first 2 shown]
	v_mul_f64_e32 v[18:19], v[14:15], v[16:17]
	v_fma_f64 v[12:13], v[14:15], v[16:17], -v[18:19]
	s_delay_alu instid0(VALU_DEP_1) | instskip(NEXT) | instid1(VALU_DEP_1)
	v_fma_f64 v[12:13], v[10:11], v[16:17], v[12:13]
	v_add_f64_e32 v[16:17], v[18:19], v[12:13]
	s_delay_alu instid0(VALU_DEP_1) | instskip(SKIP_3) | instid1(VALU_DEP_4)
	v_add_f64_e32 v[20:21], s[16:17], v[16:17]
	v_add_f64_e64 v[18:19], v[16:17], -v[18:19]
	v_cmp_lt_f64_e64 s16, |s[74:75]|, 1.0
	v_cmp_neq_f64_e64 s17, |s[74:75]|, 1.0
	v_add_f64_e32 v[24:25], s[40:41], v[20:21]
	s_delay_alu instid0(VALU_DEP_4) | instskip(SKIP_1) | instid1(VALU_DEP_3)
	v_add_f64_e64 v[12:13], v[12:13], -v[18:19]
	v_fma_f64 v[18:19], v[14:15], v[8:9], -v[22:23]
	v_add_f64_e64 v[16:17], v[16:17], -v[24:25]
	s_delay_alu instid0(VALU_DEP_3) | instskip(NEXT) | instid1(VALU_DEP_3)
	v_add_f64_e32 v[12:13], s[44:45], v[12:13]
	v_fma_f64 v[14:15], v[14:15], v[6:7], v[18:19]
	v_ldexp_f64 v[6:7], v[6:7], 1
	s_delay_alu instid0(VALU_DEP_3) | instskip(NEXT) | instid1(VALU_DEP_3)
	v_add_f64_e32 v[12:13], v[12:13], v[16:17]
	v_fma_f64 v[10:11], v[10:11], v[8:9], v[14:15]
	v_ldexp_f64 v[8:9], v[8:9], 1
	s_delay_alu instid0(VALU_DEP_3) | instskip(NEXT) | instid1(VALU_DEP_3)
	v_add_f64_e32 v[14:15], v[20:21], v[12:13]
	v_add_f64_e32 v[16:17], v[22:23], v[10:11]
	s_delay_alu instid0(VALU_DEP_2) | instskip(NEXT) | instid1(VALU_DEP_2)
	v_add_f64_e64 v[18:19], v[20:21], -v[14:15]
	v_mul_f64_e32 v[20:21], v[16:17], v[14:15]
	v_add_f64_e64 v[22:23], v[16:17], -v[22:23]
	s_delay_alu instid0(VALU_DEP_3) | instskip(NEXT) | instid1(VALU_DEP_3)
	v_add_f64_e32 v[12:13], v[12:13], v[18:19]
	v_fma_f64 v[18:19], v[16:17], v[14:15], -v[20:21]
	s_delay_alu instid0(VALU_DEP_3) | instskip(NEXT) | instid1(VALU_DEP_2)
	v_add_f64_e64 v[10:11], v[10:11], -v[22:23]
	v_fma_f64 v[12:13], v[16:17], v[12:13], v[18:19]
	s_delay_alu instid0(VALU_DEP_1) | instskip(SKIP_1) | instid1(VALU_DEP_2)
	v_fma_f64 v[10:11], v[10:11], v[14:15], v[12:13]
	v_frexp_exp_i32_f64_e32 v14, s[74:75]
	v_add_f64_e32 v[12:13], v[20:21], v[10:11]
	s_delay_alu instid0(VALU_DEP_2) | instskip(NEXT) | instid1(VALU_DEP_1)
	v_subrev_co_ci_u32_e64 v14, null, 0, v14, vcc_lo
	v_cvt_f64_i32_e32 v[14:15], v14
	s_delay_alu instid0(VALU_DEP_3) | instskip(SKIP_1) | instid1(VALU_DEP_3)
	v_add_f64_e32 v[16:17], v[8:9], v[12:13]
	v_add_f64_e64 v[18:19], v[12:13], -v[20:21]
	v_mul_f64_e32 v[20:21], s[42:43], v[14:15]
	s_delay_alu instid0(VALU_DEP_3) | instskip(NEXT) | instid1(VALU_DEP_3)
	v_add_f64_e64 v[8:9], v[16:17], -v[8:9]
	v_add_f64_e64 v[10:11], v[10:11], -v[18:19]
	s_delay_alu instid0(VALU_DEP_3) | instskip(NEXT) | instid1(VALU_DEP_3)
	v_fma_f64 v[18:19], v[14:15], s[42:43], -v[20:21]
	v_add_f64_e64 v[8:9], v[12:13], -v[8:9]
	s_delay_alu instid0(VALU_DEP_3) | instskip(NEXT) | instid1(VALU_DEP_3)
	v_add_f64_e32 v[6:7], v[6:7], v[10:11]
	v_fma_f64 v[10:11], v[14:15], s[46:47], v[18:19]
	s_delay_alu instid0(VALU_DEP_2) | instskip(NEXT) | instid1(VALU_DEP_2)
	v_add_f64_e32 v[6:7], v[6:7], v[8:9]
	v_add_f64_e32 v[8:9], v[20:21], v[10:11]
	s_delay_alu instid0(VALU_DEP_2) | instskip(NEXT) | instid1(VALU_DEP_2)
	v_add_f64_e32 v[12:13], v[16:17], v[6:7]
	v_add_f64_e64 v[20:21], v[8:9], -v[20:21]
	s_delay_alu instid0(VALU_DEP_2) | instskip(SKIP_1) | instid1(VALU_DEP_3)
	v_add_f64_e32 v[14:15], v[8:9], v[12:13]
	v_add_f64_e64 v[16:17], v[12:13], -v[16:17]
	v_add_f64_e64 v[10:11], v[10:11], -v[20:21]
	s_delay_alu instid0(VALU_DEP_3) | instskip(NEXT) | instid1(VALU_DEP_3)
	v_add_f64_e64 v[18:19], v[14:15], -v[8:9]
	v_add_f64_e64 v[6:7], v[6:7], -v[16:17]
	s_delay_alu instid0(VALU_DEP_2) | instskip(SKIP_1) | instid1(VALU_DEP_3)
	v_add_f64_e64 v[22:23], v[14:15], -v[18:19]
	v_add_f64_e64 v[12:13], v[12:13], -v[18:19]
	v_add_f64_e32 v[16:17], v[10:11], v[6:7]
	s_delay_alu instid0(VALU_DEP_3) | instskip(NEXT) | instid1(VALU_DEP_1)
	v_add_f64_e64 v[8:9], v[8:9], -v[22:23]
	v_add_f64_e32 v[8:9], v[12:13], v[8:9]
	s_delay_alu instid0(VALU_DEP_3) | instskip(NEXT) | instid1(VALU_DEP_2)
	v_add_f64_e64 v[12:13], v[16:17], -v[10:11]
	v_add_f64_e32 v[8:9], v[16:17], v[8:9]
	s_delay_alu instid0(VALU_DEP_2) | instskip(SKIP_1) | instid1(VALU_DEP_3)
	v_add_f64_e64 v[16:17], v[16:17], -v[12:13]
	v_add_f64_e64 v[6:7], v[6:7], -v[12:13]
	v_add_f64_e32 v[18:19], v[14:15], v[8:9]
	s_delay_alu instid0(VALU_DEP_3) | instskip(NEXT) | instid1(VALU_DEP_2)
	v_add_f64_e64 v[10:11], v[10:11], -v[16:17]
	v_add_f64_e64 v[12:13], v[18:19], -v[14:15]
	s_delay_alu instid0(VALU_DEP_2) | instskip(NEXT) | instid1(VALU_DEP_2)
	v_add_f64_e32 v[6:7], v[6:7], v[10:11]
	v_add_f64_e64 v[8:9], v[8:9], -v[12:13]
	s_delay_alu instid0(VALU_DEP_1) | instskip(NEXT) | instid1(VALU_DEP_1)
	v_add_f64_e32 v[6:7], v[6:7], v[8:9]
	v_add_f64_e32 v[8:9], v[18:19], v[6:7]
	s_delay_alu instid0(VALU_DEP_1) | instskip(SKIP_1) | instid1(VALU_DEP_2)
	v_add_f64_e64 v[10:11], v[8:9], -v[18:19]
	v_mul_f64_e32 v[12:13], v[3:4], v[8:9]
	v_add_f64_e64 v[6:7], v[6:7], -v[10:11]
	s_delay_alu instid0(VALU_DEP_2) | instskip(SKIP_1) | instid1(VALU_DEP_2)
	v_fma_f64 v[8:9], v[3:4], v[8:9], -v[12:13]
	v_cmp_class_f64_e64 vcc_lo, v[12:13], 0x204
	v_fma_f64 v[6:7], v[3:4], v[6:7], v[8:9]
	s_delay_alu instid0(VALU_DEP_1) | instskip(SKIP_1) | instid1(VALU_DEP_1)
	v_add_f64_e32 v[8:9], v[12:13], v[6:7]
	s_wait_alu 0xfffd
	v_dual_cndmask_b32 v11, v9, v13 :: v_dual_cndmask_b32 v10, v8, v12
	v_add_f64_e64 v[8:9], v[8:9], -v[12:13]
	s_delay_alu instid0(VALU_DEP_2)
	v_mul_f64_e32 v[14:15], s[48:49], v[10:11]
	v_cmp_nlt_f64_e64 s3, 0x40900000, v[10:11]
	v_cmp_neq_f64_e64 vcc_lo, 0x7ff00000, |v[10:11]|
	v_cmp_ngt_f64_e64 s4, 0xc090cc00, v[10:11]
	v_add_f64_e64 v[6:7], v[6:7], -v[8:9]
	v_trunc_f64_e32 v[8:9], v[3:4]
	v_rndne_f64_e32 v[14:15], v[14:15]
	s_wait_alu 0xfffd
	s_delay_alu instid0(VALU_DEP_3) | instskip(SKIP_2) | instid1(VALU_DEP_2)
	v_dual_cndmask_b32 v7, 0, v7 :: v_dual_cndmask_b32 v6, 0, v6
	s_wait_alu 0xfffe
	s_and_b32 vcc_lo, s4, s3
	v_fma_f64 v[16:17], v[14:15], s[50:51], v[10:11]
	v_cvt_i32_f64_e32 v20, v[14:15]
	s_delay_alu instid0(VALU_DEP_2) | instskip(NEXT) | instid1(VALU_DEP_1)
	v_fma_f64 v[16:17], v[14:15], s[52:53], v[16:17]
	v_fma_f64 v[18:19], v[16:17], s[56:57], s[54:55]
	s_delay_alu instid0(VALU_DEP_1) | instskip(NEXT) | instid1(VALU_DEP_1)
	v_fma_f64 v[18:19], v[16:17], v[18:19], s[58:59]
	v_fma_f64 v[18:19], v[16:17], v[18:19], s[60:61]
	s_delay_alu instid0(VALU_DEP_1) | instskip(NEXT) | instid1(VALU_DEP_1)
	;; [unrolled: 3-line block ×5, first 2 shown]
	v_fma_f64 v[18:19], v[16:17], v[18:19], 1.0
	v_fma_f64 v[14:15], v[16:17], v[18:19], 1.0
	s_delay_alu instid0(VALU_DEP_1) | instskip(SKIP_1) | instid1(VALU_DEP_2)
	v_ldexp_f64 v[12:13], v[14:15], v20
	v_mul_f64_e32 v[14:15], 0.5, v[3:4]
	v_cndmask_b32_e64 v13, 0x7ff00000, v13, s3
	s_delay_alu instid0(VALU_DEP_2) | instskip(SKIP_1) | instid1(VALU_DEP_4)
	v_trunc_f64_e32 v[10:11], v[14:15]
	s_wait_alu 0xfffe
	v_cndmask_b32_e32 v12, 0, v12, vcc_lo
	v_cmp_eq_f64_e32 vcc_lo, v[8:9], v[3:4]
	v_cndmask_b32_e64 v13, 0, v13, s4
	s_delay_alu instid0(VALU_DEP_1) | instskip(SKIP_3) | instid1(VALU_DEP_2)
	v_fma_f64 v[6:7], v[12:13], v[6:7], v[12:13]
	v_cmp_class_f64_e64 s4, v[12:13], 0x204
	v_cmp_neq_f64_e64 s3, v[10:11], v[14:15]
	s_wait_alu 0xf1ff
	v_cndmask_b32_e64 v6, v6, v12, s4
	s_delay_alu instid0(VALU_DEP_4) | instskip(SKIP_2) | instid1(VALU_DEP_3)
	v_cndmask_b32_e64 v7, v7, v13, s4
	v_cmp_neq_f64_e64 s4, v[3:4], |v[3:4]|
	s_wait_alu 0xfffd
	v_cndmask_b32_e32 v9, 0, v6, vcc_lo
	s_and_b32 s15, vcc_lo, s3
	s_wait_alu 0xfffe
	s_and_b32 s3, s15, exec_lo
	s_cselect_b32 s3, s75, 0x3ff00000
	s_wait_alu 0xfffe
	v_bfi_b32 v7, 0x7fffffff, v7, s3
	v_cmp_gt_f64_e64 s3, 0, v[3:4]
	s_delay_alu instid0(VALU_DEP_2)
	v_cndmask_b32_e32 v8, 0x7ff80000, v7, vcc_lo
	v_cmp_lt_f64_e64 vcc_lo, s[74:75], 0
	s_xor_b32 s4, s4, s16
	s_wait_alu 0xfffe
	s_and_b32 s4, s4, exec_lo
	s_cselect_b32 s4, 0, 0x7ff00000
	s_and_b32 s16, s17, exec_lo
	v_cmp_class_f64_e64 s16, v[3:4], 0x204
	s_wait_alu 0xfffe
	s_cselect_b32 s4, s4, 0x3ff00000
	s_xor_b32 s3, s3, s18
	s_wait_alu 0xfffd
	v_dual_cndmask_b32 v6, v6, v9 :: v_dual_cndmask_b32 v7, v7, v8
	s_or_b32 vcc_lo, s18, s19
	s_wait_alu 0xfffe
	s_and_b32 s3, s3, exec_lo
	s_cselect_b32 s3, 0, 0x7ff00000
	v_cndmask_b32_e64 v7, v7, s4, s16
	s_and_b32 s4, s15, exec_lo
	s_cselect_b32 s4, s75, 0
	s_mov_b32 s15, 0
	s_wait_alu 0xfffe
	v_mov_b32_e32 v8, s4
	s_add_nc_u64 s[18:19], s[0:1], s[14:15]
	s_mov_b32 s41, s15
	s_delay_alu instid0(VALU_DEP_1)
	v_bfi_b32 v8, 0x7fffffff, s3, v8
	s_or_b32 s3, vcc_lo, s16
	s_mul_u64 s[16:17], s[14:15], 3
	s_wait_alu 0xfffe
	v_cndmask_b32_e64 v6, v6, 0, s3
	s_add_nc_u64 s[16:17], s[18:19], s[16:17]
	v_cndmask_b32_e32 v7, v7, v8, vcc_lo
	v_cmp_o_f64_e32 vcc_lo, s[74:75], v[3:4]
	s_clause 0x4
	s_load_b32 s4, s[16:17], 0x800
	s_load_b64 s[24:25], s[0:1], s33 offset:0x0
	s_load_b64 s[26:27], s[0:1], s33 offset:0x120
	;; [unrolled: 1-line block ×4, first 2 shown]
	s_mov_b32 s17, s15
	v_add_f64_e64 v[6:7], -v[6:7], 1.0
	s_delay_alu instid0(VALU_DEP_1) | instskip(NEXT) | instid1(VALU_DEP_2)
	v_cndmask_b32_e32 v4, 0x7ff80000, v7, vcc_lo
	v_cndmask_b32_e32 v3, 0, v6, vcc_lo
	s_delay_alu instid0(VALU_DEP_1)
	v_cmp_gt_f64_e32 vcc_lo, 0x10000000, v[3:4]
	s_and_b32 s3, vcc_lo, exec_lo
	s_cselect_b32 s3, 0x100, 0
	v_cmp_o_f64_e32 vcc_lo, s[6:7], v[1:2]
	s_wait_alu 0xfffe
	v_ldexp_f64 v[6:7], v[3:4], s3
	s_cselect_b32 s3, 0xffffff80, 0
	s_delay_alu instid0(VALU_DEP_1) | instskip(NEXT) | instid1(TRANS32_DEP_1)
	v_rsq_f64_e32 v[3:4], v[6:7]
	v_mul_f64_e32 v[8:9], v[6:7], v[3:4]
	v_mul_f64_e32 v[3:4], 0.5, v[3:4]
	s_delay_alu instid0(VALU_DEP_1) | instskip(NEXT) | instid1(VALU_DEP_1)
	v_fma_f64 v[10:11], -v[3:4], v[8:9], 0.5
	v_fma_f64 v[8:9], v[8:9], v[10:11], v[8:9]
	v_fma_f64 v[3:4], v[3:4], v[10:11], v[3:4]
	s_delay_alu instid0(VALU_DEP_2) | instskip(NEXT) | instid1(VALU_DEP_1)
	v_fma_f64 v[10:11], -v[8:9], v[8:9], v[6:7]
	v_fma_f64 v[8:9], v[10:11], v[3:4], v[8:9]
	s_delay_alu instid0(VALU_DEP_1) | instskip(NEXT) | instid1(VALU_DEP_1)
	v_fma_f64 v[10:11], -v[8:9], v[8:9], v[6:7]
	v_fma_f64 v[8:9], v[10:11], v[3:4], v[8:9]
	v_cndmask_b32_e64 v4, v26, 0, s5
	s_wait_kmcnt 0x0
	s_ashr_i32 s5, s4, 31
	s_wait_alu 0xfffe
	s_lshl_b64 s[6:7], s[4:5], 19
	s_lshl_b64 s[4:5], s[4:5], 16
	v_add_f64_e64 v[3:4], -v[4:5], 1.0
	s_wait_alu 0xfffe
	s_add_nc_u64 s[34:35], s[26:27], s[6:7]
	s_add_nc_u64 s[20:21], s[24:25], s[6:7]
	s_wait_alu 0xfffe
	s_and_b32 s16, s34, 31
	s_and_b32 s14, s20, 31
	s_add_nc_u64 s[36:37], s[30:31], s[6:7]
	s_wait_alu 0xfffe
	s_cmp_lg_u64 s[16:17], 0
	s_add_nc_u64 s[38:39], s[28:29], s[6:7]
	s_cselect_b32 s33, -1, 0
	s_wait_alu 0xfffe
	s_or_b32 s16, s38, s36
	s_wait_alu 0xfffe
	s_and_b32 s16, s16, 31
	s_wait_alu 0xfffe
	s_cmp_lg_u32 s16, 0
	s_load_b128 s[16:19], s[0:1], 0xd30
	s_cselect_b32 s42, -1, 0
	s_and_b32 s40, s22, 3
	s_wait_alu 0xfffe
	s_or_b32 s33, s42, s33
	s_or_b64 s[14:15], s[14:15], s[40:41]
	s_sub_nc_u64 s[22:23], s[22:23], s[4:5]
	s_wait_alu 0xfffe
	s_cmp_lg_u64 s[14:15], 0
	s_cselect_b32 s14, -1, 0
	s_wait_alu 0xfffe
	s_or_b32 s14, s33, s14
	s_delay_alu instid0(VALU_DEP_3) | instskip(SKIP_1) | instid1(VALU_DEP_3)
	v_ldexp_f64 v[1:2], v[8:9], s3
	v_cmp_class_f64_e64 s3, v[6:7], 0x260
	v_cndmask_b32_e32 v38, 0x7ff80000, v4, vcc_lo
	s_delay_alu instid0(VALU_DEP_4)
	v_cndmask_b32_e32 v37, 0, v3, vcc_lo
	s_wait_alu 0xfffe
	s_and_not1_b32 vcc_lo, exec_lo, s14
	v_cndmask_b32_e64 v36, v2, v7, s3
	v_cndmask_b32_e64 v35, v1, v6, s3
	s_mov_b32 s3, -1
	s_wait_alu 0xfffe
	s_cbranch_vccz .LBB1_20
; %bb.6:
	v_cmp_gt_i64_e64 s3, 0x10000, s[22:23]
	v_dual_mov_b32 v40, 0 :: v_dual_lshlrev_b32 v39, 2, v0
	s_mov_b32 s33, exec_lo
	s_and_b32 s3, s3, exec_lo
	s_cselect_b32 s15, s23, 0
	s_cselect_b32 s14, s22, 0x10000
	s_wait_alu 0xfffe
	v_cmpx_gt_i64_e64 s[14:15], v[39:40]
	s_cbranch_execz .LBB1_19
; %bb.7:
	v_div_scale_f64 v[1:2], null, v[37:38], v[37:38], v[33:34]
	s_wait_kmcnt 0x0
	v_cmp_neq_f64_e64 s3, s[16:17], 0
	s_load_b32 s4, s[0:1], 0xd64
	s_cmp_lg_u64 s[12:13], 0
	s_mov_b32 s41, 0
	s_cselect_b32 s42, -1, 0
	s_wait_alu 0xfffe
	s_mov_b32 s44, s41
	s_wait_kmcnt 0x0
	s_and_b32 s43, s4, 0xffff
	s_wait_alu 0xfffe
	s_lshl_b32 s40, s43, 5
	v_rcp_f64_e32 v[3:4], v[1:2]
	s_delay_alu instid0(TRANS32_DEP_1) | instskip(NEXT) | instid1(VALU_DEP_1)
	v_fma_f64 v[5:6], -v[1:2], v[3:4], 1.0
	v_fma_f64 v[3:4], v[3:4], v[5:6], v[3:4]
	s_delay_alu instid0(VALU_DEP_1) | instskip(NEXT) | instid1(VALU_DEP_1)
	v_fma_f64 v[5:6], -v[1:2], v[3:4], 1.0
	v_fma_f64 v[3:4], v[3:4], v[5:6], v[3:4]
	v_div_scale_f64 v[5:6], vcc_lo, v[33:34], v[37:38], v[33:34]
	s_delay_alu instid0(VALU_DEP_1) | instskip(NEXT) | instid1(VALU_DEP_1)
	v_mul_f64_e32 v[7:8], v[5:6], v[3:4]
	v_fma_f64 v[1:2], -v[1:2], v[7:8], v[5:6]
	s_wait_alu 0xfffd
	s_delay_alu instid0(VALU_DEP_1) | instskip(NEXT) | instid1(VALU_DEP_1)
	v_div_fmas_f64 v[1:2], v[1:2], v[3:4], v[7:8]
	v_div_fixup_f64 v[41:42], v[1:2], v[37:38], v[33:34]
	v_mov_b32_e32 v1, v40
	s_delay_alu instid0(VALU_DEP_1)
	v_dual_mov_b32 v44, v1 :: v_dual_lshlrev_b32 v39, 5, v0
	v_mov_b32_e32 v43, v0
	s_branch .LBB1_9
.LBB1_8:                                ;   in Loop: Header=BB1_9 Depth=1
	v_add_co_u32 v43, vcc_lo, v43, s43
	s_wait_alu 0xfffd
	v_add_co_ci_u32_e64 v44, null, 0, v44, vcc_lo
	s_add_nc_u64 s[38:39], s[38:39], s[40:41]
	s_add_nc_u64 s[20:21], s[20:21], s[40:41]
	;; [unrolled: 1-line block ×3, first 2 shown]
	v_lshlrev_b64_e32 v[1:2], 2, v[43:44]
	s_add_nc_u64 s[34:35], s[34:35], s[40:41]
	s_clause 0x1
	global_store_b128 v[47:48], v[21:24], off
	global_store_b128 v[47:48], v[17:20], off offset:16
	s_clause 0x1
	global_store_b128 v[45:46], v[29:32], off
	global_store_b128 v[45:46], v[25:28], off offset:16
	v_cmp_le_i64_e32 vcc_lo, s[14:15], v[1:2]
	s_or_b32 s44, vcc_lo, s44
	s_wait_alu 0xfffe
	s_and_not1_b32 exec_lo, exec_lo, s44
	s_cbranch_execz .LBB1_19
.LBB1_9:                                ; =>This Inner Loop Header: Depth=1
	s_delay_alu instid0(VALU_DEP_2)
	v_add_co_u32 v51, s4, s20, v39
	s_wait_alu 0xf1ff
	v_add_co_ci_u32_e64 v52, null, s21, 0, s4
	v_add_co_u32 v49, s4, s34, v39
	s_wait_alu 0xf1ff
	v_add_co_ci_u32_e64 v50, null, s35, 0, s4
	v_add_co_u32 v47, s4, s36, v39
	s_wait_alu 0xf1ff
	v_add_co_ci_u32_e64 v48, null, s37, 0, s4
	v_add_co_u32 v45, s4, s38, v39
	s_wait_alu 0xf1ff
	v_add_co_ci_u32_e64 v46, null, s39, 0, s4
	s_clause 0x1
	global_load_b128 v[9:12], v[51:52], off offset:16
	global_load_b128 v[13:16], v[51:52], off
	s_clause 0x1
	global_load_b128 v[1:4], v[49:50], off offset:16
	global_load_b128 v[5:8], v[49:50], off
	;; [unrolled: 3-line block ×4, first 2 shown]
	s_and_not1_b32 vcc_lo, exec_lo, s42
	s_wait_alu 0xfffe
	s_cbranch_vccnz .LBB1_11
; %bb.10:                               ;   in Loop: Header=BB1_9 Depth=1
	global_load_b32 v53, v40, s[12:13]
	s_wait_loadcnt 0x0
	v_cvt_f64_f32_e32 v[53:54], v53
	s_delay_alu instid0(VALU_DEP_1) | instskip(NEXT) | instid1(VALU_DEP_1)
	v_div_scale_f64 v[55:56], null, v[53:54], v[53:54], v[5:6]
	v_rcp_f64_e32 v[57:58], v[55:56]
	s_delay_alu instid0(TRANS32_DEP_1) | instskip(NEXT) | instid1(VALU_DEP_1)
	v_fma_f64 v[59:60], -v[55:56], v[57:58], 1.0
	v_fma_f64 v[57:58], v[57:58], v[59:60], v[57:58]
	s_delay_alu instid0(VALU_DEP_1) | instskip(NEXT) | instid1(VALU_DEP_1)
	v_fma_f64 v[59:60], -v[55:56], v[57:58], 1.0
	v_fma_f64 v[57:58], v[57:58], v[59:60], v[57:58]
	v_div_scale_f64 v[59:60], vcc_lo, v[5:6], v[53:54], v[5:6]
	s_delay_alu instid0(VALU_DEP_1) | instskip(NEXT) | instid1(VALU_DEP_1)
	v_mul_f64_e32 v[61:62], v[59:60], v[57:58]
	v_fma_f64 v[55:56], -v[55:56], v[61:62], v[59:60]
	s_wait_alu 0xfffd
	s_delay_alu instid0(VALU_DEP_1) | instskip(NEXT) | instid1(VALU_DEP_1)
	v_div_fmas_f64 v[55:56], v[55:56], v[57:58], v[61:62]
	v_div_fixup_f64 v[5:6], v[55:56], v[53:54], v[5:6]
.LBB1_11:                               ;   in Loop: Header=BB1_9 Depth=1
	s_and_not1_b32 vcc_lo, exec_lo, s42
	s_wait_alu 0xfffe
	s_cbranch_vccnz .LBB1_13
; %bb.12:                               ;   in Loop: Header=BB1_9 Depth=1
	global_load_b32 v53, v40, s[12:13]
	s_wait_loadcnt 0x0
	v_cvt_f64_f32_e32 v[53:54], v53
	s_delay_alu instid0(VALU_DEP_1) | instskip(NEXT) | instid1(VALU_DEP_1)
	v_div_scale_f64 v[55:56], null, v[53:54], v[53:54], v[7:8]
	v_rcp_f64_e32 v[57:58], v[55:56]
	s_delay_alu instid0(TRANS32_DEP_1) | instskip(NEXT) | instid1(VALU_DEP_1)
	v_fma_f64 v[59:60], -v[55:56], v[57:58], 1.0
	v_fma_f64 v[57:58], v[57:58], v[59:60], v[57:58]
	s_delay_alu instid0(VALU_DEP_1) | instskip(NEXT) | instid1(VALU_DEP_1)
	v_fma_f64 v[59:60], -v[55:56], v[57:58], 1.0
	v_fma_f64 v[57:58], v[57:58], v[59:60], v[57:58]
	v_div_scale_f64 v[59:60], vcc_lo, v[7:8], v[53:54], v[7:8]
	s_delay_alu instid0(VALU_DEP_1) | instskip(NEXT) | instid1(VALU_DEP_1)
	v_mul_f64_e32 v[61:62], v[59:60], v[57:58]
	v_fma_f64 v[55:56], -v[55:56], v[61:62], v[59:60]
	s_wait_alu 0xfffd
	s_delay_alu instid0(VALU_DEP_1) | instskip(NEXT) | instid1(VALU_DEP_1)
	v_div_fmas_f64 v[55:56], v[55:56], v[57:58], v[61:62]
	v_div_fixup_f64 v[7:8], v[55:56], v[53:54], v[7:8]
.LBB1_13:                               ;   in Loop: Header=BB1_9 Depth=1
	;; [unrolled: 25-line block ×4, first 2 shown]
	s_wait_loadcnt 0x5
	s_delay_alu instid0(VALU_DEP_1) | instskip(NEXT) | instid1(VALU_DEP_2)
	v_xor_b32_e32 v54, 0x80000000, v2
	v_mov_b32_e32 v53, v1
	s_delay_alu instid0(VALU_DEP_2) | instskip(NEXT) | instid1(VALU_DEP_1)
	v_cndmask_b32_e64 v54, v2, v54, s2
	v_fma_f64 v[55:56], s[16:17], v[9:10], v[53:54]
	s_delay_alu instid0(VALU_DEP_1) | instskip(NEXT) | instid1(VALU_DEP_2)
	v_cndmask_b32_e64 v54, v54, v56, s3
	v_cndmask_b32_e64 v53, v1, v55, s3
	s_delay_alu instid0(VALU_DEP_1) | instskip(SKIP_1) | instid1(VALU_DEP_2)
	v_mul_f64_e32 v[55:56], v[53:54], v[53:54]
	v_fma_f64 v[53:54], -s[8:9], v[53:54], v[53:54]
	v_fma_f64 v[55:56], -s[10:11], v[55:56], v[55:56]
	s_wait_loadcnt 0x3
	s_delay_alu instid0(VALU_DEP_2) | instskip(SKIP_1) | instid1(VALU_DEP_2)
	v_fma_f64 v[17:18], s[8:9], v[17:18], v[53:54]
	s_wait_loadcnt 0x1
	v_fma_f64 v[25:26], s[10:11], v[25:26], v[55:56]
	s_delay_alu instid0(VALU_DEP_1) | instskip(SKIP_2) | instid1(VALU_DEP_1)
	v_cmp_gt_f64_e32 vcc_lo, 0x10000000, v[25:26]
	s_wait_alu 0xfffd
	v_cndmask_b32_e64 v55, 0, 0x100, vcc_lo
	v_ldexp_f64 v[55:56], v[25:26], v55
	s_delay_alu instid0(VALU_DEP_1) | instskip(NEXT) | instid1(TRANS32_DEP_1)
	v_rsq_f64_e32 v[57:58], v[55:56]
	v_mul_f64_e32 v[59:60], v[55:56], v[57:58]
	v_mul_f64_e32 v[57:58], 0.5, v[57:58]
	s_delay_alu instid0(VALU_DEP_1) | instskip(NEXT) | instid1(VALU_DEP_1)
	v_fma_f64 v[61:62], -v[57:58], v[59:60], 0.5
	v_fma_f64 v[59:60], v[59:60], v[61:62], v[59:60]
	v_fma_f64 v[57:58], v[57:58], v[61:62], v[57:58]
	s_delay_alu instid0(VALU_DEP_2) | instskip(NEXT) | instid1(VALU_DEP_1)
	v_fma_f64 v[61:62], -v[59:60], v[59:60], v[55:56]
	v_fma_f64 v[59:60], v[61:62], v[57:58], v[59:60]
	v_xor_b32_e32 v62, 0x80000000, v8
	v_mov_b32_e32 v61, v7
	s_delay_alu instid0(VALU_DEP_2) | instskip(NEXT) | instid1(VALU_DEP_1)
	v_cndmask_b32_e64 v62, v8, v62, s2
	v_fma_f64 v[63:64], s[16:17], v[15:16], v[61:62]
	v_fma_f64 v[65:66], -v[59:60], v[59:60], v[55:56]
	s_delay_alu instid0(VALU_DEP_2) | instskip(NEXT) | instid1(VALU_DEP_3)
	v_cndmask_b32_e64 v62, v62, v64, s3
	v_cndmask_b32_e64 v61, v7, v63, s3
	s_delay_alu instid0(VALU_DEP_1)
	v_mul_f64_e32 v[63:64], v[61:62], v[61:62]
	v_fma_f64 v[61:62], -s[8:9], v[61:62], v[61:62]
	v_fma_f64 v[57:58], v[65:66], v[57:58], v[59:60]
	v_cndmask_b32_e64 v65, 0, 0xffffff80, vcc_lo
	v_cmp_class_f64_e64 vcc_lo, v[55:56], 0x260
	v_fma_f64 v[59:60], -s[10:11], v[63:64], v[63:64]
	v_fma_f64 v[23:24], s[8:9], v[23:24], v[61:62]
	s_delay_alu instid0(VALU_DEP_4) | instskip(SKIP_1) | instid1(VALU_DEP_3)
	v_ldexp_f64 v[57:58], v[57:58], v65
	s_wait_loadcnt 0x0
	v_fma_f64 v[31:32], s[10:11], v[31:32], v[59:60]
	s_wait_alu 0xfffd
	s_delay_alu instid0(VALU_DEP_2) | instskip(NEXT) | instid1(VALU_DEP_1)
	v_dual_cndmask_b32 v56, v58, v56 :: v_dual_cndmask_b32 v55, v57, v55
	v_div_scale_f64 v[57:58], null, v[35:36], v[35:36], v[55:56]
	v_div_scale_f64 v[73:74], vcc_lo, v[55:56], v[35:36], v[55:56]
	s_delay_alu instid0(VALU_DEP_4) | instskip(NEXT) | instid1(VALU_DEP_3)
	v_cmp_gt_f64_e64 s4, 0x10000000, v[31:32]
	v_rcp_f64_e32 v[63:64], v[57:58]
	s_wait_alu 0xf1ff
	s_delay_alu instid0(VALU_DEP_1) | instskip(NEXT) | instid1(VALU_DEP_1)
	v_cndmask_b32_e64 v59, 0, 0x100, s4
	v_ldexp_f64 v[59:60], v[31:32], v59
	s_delay_alu instid0(TRANS32_DEP_1) | instskip(NEXT) | instid1(VALU_DEP_2)
	v_fma_f64 v[67:68], -v[57:58], v[63:64], 1.0
	v_rsq_f64_e32 v[65:66], v[59:60]
	s_delay_alu instid0(VALU_DEP_1) | instskip(NEXT) | instid1(TRANS32_DEP_1)
	v_fma_f64 v[63:64], v[63:64], v[67:68], v[63:64]
	v_mul_f64_e32 v[69:70], v[59:60], v[65:66]
	v_mul_f64_e32 v[65:66], 0.5, v[65:66]
	s_delay_alu instid0(VALU_DEP_3) | instskip(NEXT) | instid1(VALU_DEP_2)
	v_fma_f64 v[71:72], -v[57:58], v[63:64], 1.0
	v_fma_f64 v[67:68], -v[65:66], v[69:70], 0.5
	s_delay_alu instid0(VALU_DEP_2) | instskip(NEXT) | instid1(VALU_DEP_2)
	v_fma_f64 v[63:64], v[63:64], v[71:72], v[63:64]
	v_fma_f64 v[69:70], v[69:70], v[67:68], v[69:70]
	;; [unrolled: 1-line block ×3, first 2 shown]
	s_delay_alu instid0(VALU_DEP_3) | instskip(NEXT) | instid1(VALU_DEP_3)
	v_mul_f64_e32 v[71:72], v[73:74], v[63:64]
	v_fma_f64 v[67:68], -v[69:70], v[69:70], v[59:60]
	s_delay_alu instid0(VALU_DEP_2) | instskip(NEXT) | instid1(VALU_DEP_2)
	v_fma_f64 v[57:58], -v[57:58], v[71:72], v[73:74]
	v_fma_f64 v[67:68], v[67:68], v[65:66], v[69:70]
	v_xor_b32_e32 v70, 0x80000000, v6
	v_mov_b32_e32 v69, v5
	s_delay_alu instid0(VALU_DEP_2) | instskip(NEXT) | instid1(VALU_DEP_1)
	v_cndmask_b32_e64 v70, v6, v70, s2
	v_fma_f64 v[73:74], s[16:17], v[13:14], v[69:70]
	s_wait_alu 0xfffd
	v_div_fmas_f64 v[57:58], v[57:58], v[63:64], v[71:72]
	v_cmp_class_f64_e64 vcc_lo, v[59:60], 0x260
	v_fma_f64 v[75:76], -v[67:68], v[67:68], v[59:60]
	s_delay_alu instid0(VALU_DEP_4) | instskip(SKIP_1) | instid1(VALU_DEP_1)
	v_cndmask_b32_e64 v64, v70, v74, s3
	v_cndmask_b32_e64 v63, v5, v73, s3
	v_mul_f64_e32 v[69:70], v[63:64], v[63:64]
	v_fma_f64 v[63:64], -s[8:9], v[63:64], v[63:64]
	v_div_fixup_f64 v[53:54], v[57:58], v[35:36], v[55:56]
	v_cndmask_b32_e64 v57, 0, 0xffffff80, s4
	v_fma_f64 v[65:66], v[75:76], v[65:66], v[67:68]
	v_fma_f64 v[55:56], -s[10:11], v[69:70], v[69:70]
	v_fma_f64 v[21:22], s[8:9], v[21:22], v[63:64]
	v_add_f64_e32 v[53:54], s[18:19], v[53:54]
	s_delay_alu instid0(VALU_DEP_4) | instskip(SKIP_3) | instid1(VALU_DEP_3)
	v_ldexp_f64 v[57:58], v[65:66], v57
	v_mul_f64_e32 v[65:66], v[41:42], v[17:18]
	v_fma_f64 v[29:30], s[10:11], v[29:30], v[55:56]
	s_wait_alu 0xfffd
	v_dual_cndmask_b32 v56, v58, v60 :: v_dual_cndmask_b32 v55, v57, v59
	s_delay_alu instid0(VALU_DEP_3) | instskip(SKIP_1) | instid1(VALU_DEP_3)
	v_div_scale_f64 v[57:58], null, v[53:54], v[53:54], v[65:66]
	v_div_scale_f64 v[83:84], vcc_lo, v[65:66], v[53:54], v[65:66]
	v_div_scale_f64 v[59:60], null, v[35:36], v[35:36], v[55:56]
	v_cmp_gt_f64_e64 s4, 0x10000000, v[29:30]
	s_delay_alu instid0(VALU_DEP_4) | instskip(NEXT) | instid1(VALU_DEP_2)
	v_rcp_f64_e32 v[69:70], v[57:58]
	v_rcp_f64_e32 v[71:72], v[59:60]
	s_wait_alu 0xf1ff
	s_delay_alu instid0(VALU_DEP_1) | instskip(SKIP_1) | instid1(VALU_DEP_2)
	v_cndmask_b32_e64 v67, 0, 0x100, s4
	v_cndmask_b32_e64 v61, 0, 0xffffff80, s4
	v_ldexp_f64 v[67:68], v[29:30], v67
	s_delay_alu instid0(TRANS32_DEP_2) | instskip(NEXT) | instid1(TRANS32_DEP_1)
	v_fma_f64 v[75:76], -v[57:58], v[69:70], 1.0
	v_fma_f64 v[77:78], -v[59:60], v[71:72], 1.0
	s_delay_alu instid0(VALU_DEP_3) | instskip(NEXT) | instid1(VALU_DEP_2)
	v_rsq_f64_e32 v[73:74], v[67:68]
	v_fma_f64 v[69:70], v[69:70], v[75:76], v[69:70]
	s_delay_alu instid0(VALU_DEP_2) | instskip(NEXT) | instid1(TRANS32_DEP_1)
	v_fma_f64 v[71:72], v[71:72], v[77:78], v[71:72]
	v_mul_f64_e32 v[79:80], v[67:68], v[73:74]
	v_mul_f64_e32 v[73:74], 0.5, v[73:74]
	s_delay_alu instid0(VALU_DEP_4) | instskip(NEXT) | instid1(VALU_DEP_4)
	v_fma_f64 v[77:78], -v[57:58], v[69:70], 1.0
	v_fma_f64 v[81:82], -v[59:60], v[71:72], 1.0
	s_delay_alu instid0(VALU_DEP_3) | instskip(NEXT) | instid1(VALU_DEP_3)
	v_fma_f64 v[75:76], -v[73:74], v[79:80], 0.5
	v_fma_f64 v[69:70], v[69:70], v[77:78], v[69:70]
	v_div_scale_f64 v[77:78], s5, v[55:56], v[35:36], v[55:56]
	s_delay_alu instid0(VALU_DEP_4) | instskip(NEXT) | instid1(VALU_DEP_4)
	v_fma_f64 v[71:72], v[71:72], v[81:82], v[71:72]
	v_fma_f64 v[79:80], v[79:80], v[75:76], v[79:80]
	;; [unrolled: 1-line block ×3, first 2 shown]
	v_mul_f64_e32 v[81:82], v[83:84], v[69:70]
	s_delay_alu instid0(VALU_DEP_4) | instskip(NEXT) | instid1(VALU_DEP_4)
	v_mul_f64_e32 v[85:86], v[77:78], v[71:72]
	v_fma_f64 v[75:76], -v[79:80], v[79:80], v[67:68]
	s_delay_alu instid0(VALU_DEP_3) | instskip(NEXT) | instid1(VALU_DEP_3)
	v_fma_f64 v[57:58], -v[57:58], v[81:82], v[83:84]
	v_fma_f64 v[59:60], -v[59:60], v[85:86], v[77:78]
	v_xor_b32_e32 v78, 0x80000000, v4
	v_mov_b32_e32 v77, v3
	s_delay_alu instid0(VALU_DEP_2) | instskip(SKIP_1) | instid1(VALU_DEP_2)
	v_cndmask_b32_e64 v78, v4, v78, s2
	v_fma_f64 v[75:76], v[75:76], v[73:74], v[79:80]
	v_fma_f64 v[79:80], s[16:17], v[11:12], v[77:78]
	s_wait_alu 0xfffd
	v_div_fmas_f64 v[57:58], v[57:58], v[69:70], v[81:82]
	s_mov_b32 vcc_lo, s5
	s_wait_alu 0xfffe
	v_div_fmas_f64 v[59:60], v[59:60], v[71:72], v[85:86]
	v_cmp_class_f64_e64 vcc_lo, v[67:68], 0x260
	v_fma_f64 v[83:84], -v[75:76], v[75:76], v[67:68]
	v_cndmask_b32_e64 v70, v78, v80, s3
	v_cndmask_b32_e64 v69, v3, v79, s3
	s_delay_alu instid0(VALU_DEP_1)
	v_mul_f64_e32 v[71:72], v[69:70], v[69:70]
	v_fma_f64 v[69:70], -s[8:9], v[69:70], v[69:70]
	v_div_fixup_f64 v[53:54], v[57:58], v[53:54], v[65:66]
	v_div_fixup_f64 v[55:56], v[59:60], v[35:36], v[55:56]
	v_fma_f64 v[73:74], v[83:84], v[73:74], v[75:76]
	v_fma_f64 v[59:60], -s[10:11], v[71:72], v[71:72]
	v_mul_f64_e32 v[71:72], v[41:42], v[23:24]
	v_fma_f64 v[19:20], s[8:9], v[19:20], v[69:70]
	v_add_f64_e64 v[9:10], v[9:10], -v[53:54]
	v_add_f64_e32 v[55:56], s[18:19], v[55:56]
	v_ldexp_f64 v[61:62], v[73:74], v61
	v_fma_f64 v[27:28], s[10:11], v[27:28], v[59:60]
	v_mul_f64_e32 v[69:70], v[41:42], v[19:20]
	s_wait_alu 0xfffd
	s_delay_alu instid0(VALU_DEP_3) | instskip(SKIP_2) | instid1(VALU_DEP_3)
	v_dual_cndmask_b32 v60, v62, v68 :: v_dual_cndmask_b32 v59, v61, v67
	v_div_scale_f64 v[61:62], null, v[55:56], v[55:56], v[71:72]
	v_div_scale_f64 v[89:90], vcc_lo, v[71:72], v[55:56], v[71:72]
	v_div_scale_f64 v[67:68], null, v[35:36], v[35:36], v[59:60]
	v_cmp_gt_f64_e64 s4, 0x10000000, v[27:28]
	s_delay_alu instid0(VALU_DEP_4) | instskip(NEXT) | instid1(VALU_DEP_2)
	v_rcp_f64_e32 v[75:76], v[61:62]
	v_rcp_f64_e32 v[77:78], v[67:68]
	s_wait_alu 0xf1ff
	s_delay_alu instid0(VALU_DEP_1) | instskip(SKIP_1) | instid1(VALU_DEP_2)
	v_cndmask_b32_e64 v73, 0, 0x100, s4
	v_cndmask_b32_e64 v63, 0, 0xffffff80, s4
	v_ldexp_f64 v[73:74], v[27:28], v73
	s_delay_alu instid0(TRANS32_DEP_2) | instskip(NEXT) | instid1(TRANS32_DEP_1)
	v_fma_f64 v[81:82], -v[61:62], v[75:76], 1.0
	v_fma_f64 v[83:84], -v[67:68], v[77:78], 1.0
	s_delay_alu instid0(VALU_DEP_3) | instskip(NEXT) | instid1(VALU_DEP_2)
	v_rsq_f64_e32 v[79:80], v[73:74]
	v_fma_f64 v[75:76], v[75:76], v[81:82], v[75:76]
	s_delay_alu instid0(VALU_DEP_2) | instskip(NEXT) | instid1(TRANS32_DEP_1)
	v_fma_f64 v[77:78], v[77:78], v[83:84], v[77:78]
	v_mul_f64_e32 v[85:86], v[73:74], v[79:80]
	v_mul_f64_e32 v[79:80], 0.5, v[79:80]
	s_delay_alu instid0(VALU_DEP_4) | instskip(NEXT) | instid1(VALU_DEP_4)
	v_fma_f64 v[83:84], -v[61:62], v[75:76], 1.0
	v_fma_f64 v[87:88], -v[67:68], v[77:78], 1.0
	s_delay_alu instid0(VALU_DEP_3) | instskip(NEXT) | instid1(VALU_DEP_3)
	v_fma_f64 v[81:82], -v[79:80], v[85:86], 0.5
	v_fma_f64 v[75:76], v[75:76], v[83:84], v[75:76]
	v_div_scale_f64 v[83:84], s5, v[59:60], v[35:36], v[59:60]
	s_delay_alu instid0(VALU_DEP_4) | instskip(NEXT) | instid1(VALU_DEP_4)
	v_fma_f64 v[77:78], v[77:78], v[87:88], v[77:78]
	v_fma_f64 v[85:86], v[85:86], v[81:82], v[85:86]
	;; [unrolled: 1-line block ×3, first 2 shown]
	v_mul_f64_e32 v[87:88], v[89:90], v[75:76]
	s_delay_alu instid0(VALU_DEP_4) | instskip(NEXT) | instid1(VALU_DEP_4)
	v_mul_f64_e32 v[91:92], v[83:84], v[77:78]
	v_fma_f64 v[81:82], -v[85:86], v[85:86], v[73:74]
	s_delay_alu instid0(VALU_DEP_3) | instskip(NEXT) | instid1(VALU_DEP_3)
	v_fma_f64 v[61:62], -v[61:62], v[87:88], v[89:90]
	v_fma_f64 v[67:68], -v[67:68], v[91:92], v[83:84]
	s_delay_alu instid0(VALU_DEP_3) | instskip(SKIP_1) | instid1(VALU_DEP_3)
	v_fma_f64 v[81:82], v[81:82], v[79:80], v[85:86]
	s_wait_alu 0xfffd
	v_div_fmas_f64 v[61:62], v[61:62], v[75:76], v[87:88]
	s_mov_b32 vcc_lo, s5
	s_wait_alu 0xfffe
	s_delay_alu instid0(VALU_DEP_3) | instskip(SKIP_1) | instid1(VALU_DEP_4)
	v_div_fmas_f64 v[67:68], v[67:68], v[77:78], v[91:92]
	v_cmp_class_f64_e64 vcc_lo, v[73:74], 0x260
	v_fma_f64 v[83:84], -v[81:82], v[81:82], v[73:74]
	s_delay_alu instid0(VALU_DEP_4) | instskip(NEXT) | instid1(VALU_DEP_4)
	v_div_fixup_f64 v[55:56], v[61:62], v[55:56], v[71:72]
	v_div_fixup_f64 v[59:60], v[67:68], v[35:36], v[59:60]
	v_mul_f64_e32 v[67:68], v[41:42], v[21:22]
	s_delay_alu instid0(VALU_DEP_4) | instskip(NEXT) | instid1(VALU_DEP_4)
	v_fma_f64 v[75:76], v[83:84], v[79:80], v[81:82]
	v_add_f64_e64 v[15:16], v[15:16], -v[55:56]
	s_delay_alu instid0(VALU_DEP_4) | instskip(NEXT) | instid1(VALU_DEP_3)
	v_add_f64_e32 v[59:60], s[18:19], v[59:60]
	v_ldexp_f64 v[63:64], v[75:76], v63
	s_wait_alu 0xfffd
	s_delay_alu instid0(VALU_DEP_1) | instskip(NEXT) | instid1(VALU_DEP_3)
	v_dual_cndmask_b32 v64, v64, v74 :: v_dual_cndmask_b32 v63, v63, v73
	v_div_scale_f64 v[73:74], null, v[59:60], v[59:60], v[67:68]
	v_div_scale_f64 v[85:86], vcc_lo, v[67:68], v[59:60], v[67:68]
	s_delay_alu instid0(VALU_DEP_3) | instskip(NEXT) | instid1(VALU_DEP_3)
	v_div_scale_f64 v[75:76], null, v[35:36], v[35:36], v[63:64]
	v_rcp_f64_e32 v[77:78], v[73:74]
	s_delay_alu instid0(VALU_DEP_1) | instskip(NEXT) | instid1(TRANS32_DEP_2)
	v_rcp_f64_e32 v[79:80], v[75:76]
	v_fma_f64 v[81:82], -v[73:74], v[77:78], 1.0
	s_delay_alu instid0(TRANS32_DEP_1) | instskip(NEXT) | instid1(VALU_DEP_2)
	v_fma_f64 v[83:84], -v[75:76], v[79:80], 1.0
	v_fma_f64 v[77:78], v[77:78], v[81:82], v[77:78]
	s_delay_alu instid0(VALU_DEP_2) | instskip(NEXT) | instid1(VALU_DEP_2)
	v_fma_f64 v[79:80], v[79:80], v[83:84], v[79:80]
	v_fma_f64 v[81:82], -v[73:74], v[77:78], 1.0
	s_delay_alu instid0(VALU_DEP_2) | instskip(NEXT) | instid1(VALU_DEP_2)
	v_fma_f64 v[83:84], -v[75:76], v[79:80], 1.0
	v_fma_f64 v[77:78], v[77:78], v[81:82], v[77:78]
	v_div_scale_f64 v[81:82], s4, v[63:64], v[35:36], v[63:64]
	s_delay_alu instid0(VALU_DEP_3) | instskip(NEXT) | instid1(VALU_DEP_3)
	v_fma_f64 v[79:80], v[79:80], v[83:84], v[79:80]
	v_mul_f64_e32 v[83:84], v[85:86], v[77:78]
	s_delay_alu instid0(VALU_DEP_2) | instskip(NEXT) | instid1(VALU_DEP_2)
	v_mul_f64_e32 v[87:88], v[81:82], v[79:80]
	v_fma_f64 v[73:74], -v[73:74], v[83:84], v[85:86]
	s_delay_alu instid0(VALU_DEP_2) | instskip(SKIP_1) | instid1(VALU_DEP_2)
	v_fma_f64 v[75:76], -v[75:76], v[87:88], v[81:82]
	s_wait_alu 0xfffd
	v_div_fmas_f64 v[73:74], v[73:74], v[77:78], v[83:84]
	s_mov_b32 vcc_lo, s4
	s_wait_alu 0xfffe
	s_delay_alu instid0(VALU_DEP_2) | instskip(NEXT) | instid1(VALU_DEP_2)
	v_div_fmas_f64 v[75:76], v[75:76], v[79:80], v[87:88]
	v_div_fixup_f64 v[57:58], v[73:74], v[59:60], v[67:68]
	s_delay_alu instid0(VALU_DEP_2) | instskip(NEXT) | instid1(VALU_DEP_2)
	v_div_fixup_f64 v[63:64], v[75:76], v[35:36], v[63:64]
	v_add_f64_e64 v[13:14], v[13:14], -v[57:58]
	s_delay_alu instid0(VALU_DEP_2) | instskip(NEXT) | instid1(VALU_DEP_1)
	v_add_f64_e32 v[63:64], s[18:19], v[63:64]
	v_div_scale_f64 v[75:76], null, v[63:64], v[63:64], v[69:70]
	s_delay_alu instid0(VALU_DEP_1) | instskip(NEXT) | instid1(TRANS32_DEP_1)
	v_rcp_f64_e32 v[77:78], v[75:76]
	v_fma_f64 v[79:80], -v[75:76], v[77:78], 1.0
	s_delay_alu instid0(VALU_DEP_1) | instskip(NEXT) | instid1(VALU_DEP_1)
	v_fma_f64 v[77:78], v[77:78], v[79:80], v[77:78]
	v_fma_f64 v[79:80], -v[75:76], v[77:78], 1.0
	s_delay_alu instid0(VALU_DEP_1) | instskip(SKIP_1) | instid1(VALU_DEP_1)
	v_fma_f64 v[77:78], v[77:78], v[79:80], v[77:78]
	v_div_scale_f64 v[79:80], vcc_lo, v[69:70], v[63:64], v[69:70]
	v_mul_f64_e32 v[81:82], v[79:80], v[77:78]
	s_delay_alu instid0(VALU_DEP_1) | instskip(SKIP_1) | instid1(VALU_DEP_1)
	v_fma_f64 v[75:76], -v[75:76], v[81:82], v[79:80]
	s_wait_alu 0xfffd
	v_div_fmas_f64 v[75:76], v[75:76], v[77:78], v[81:82]
	s_and_not1_b32 vcc_lo, exec_lo, s42
	s_delay_alu instid0(VALU_DEP_1) | instskip(NEXT) | instid1(VALU_DEP_1)
	v_div_fixup_f64 v[59:60], v[75:76], v[63:64], v[69:70]
	v_add_f64_e64 v[11:12], v[11:12], -v[59:60]
	s_clause 0x1
	global_store_b128 v[51:52], v[13:16], off
	global_store_b128 v[51:52], v[9:12], off offset:16
	s_wait_alu 0xfffe
	s_cbranch_vccnz .LBB1_8
; %bb.18:                               ;   in Loop: Header=BB1_9 Depth=1
	s_clause 0x1
	global_store_b128 v[49:50], v[5:8], off
	global_store_b128 v[49:50], v[1:4], off offset:16
	s_branch .LBB1_8
.LBB1_19:
	s_or_b32 exec_lo, exec_lo, s33
	s_mov_b32 s3, 0
.LBB1_20:
	s_wait_alu 0xfffe
	s_and_not1_b32 vcc_lo, exec_lo, s3
	s_wait_alu 0xfffe
	s_cbranch_vccnz .LBB1_82
; %bb.21:
	v_cmp_lt_i64_e64 s3, s[22:23], 1
	s_and_b32 vcc_lo, exec_lo, s3
	s_wait_alu 0xfffe
	s_cbranch_vccnz .LBB1_82
; %bb.22:
	v_div_scale_f64 v[1:2], null, v[37:38], v[37:38], v[33:34]
	v_div_scale_f64 v[7:8], vcc_lo, v[33:34], v[37:38], v[33:34]
	s_load_b32 s1, s[0:1], 0xd64
	v_cmp_gt_i64_e64 s3, 0x10000, s[22:23]
	s_wait_kmcnt 0x0
	v_cmp_neq_f64_e64 s0, s[16:17], 0
	v_cmp_gt_u64_e64 s4, 0x10000, s[22:23]
	s_mov_b32 s15, 0
	s_and_b32 s3, s3, exec_lo
	s_cselect_b32 s21, s23, 0
	s_cselect_b32 s20, s22, 0x10000
	s_and_b32 s1, s1, 0xffff
	s_and_b32 s3, s4, exec_lo
	s_wait_alu 0xfffe
	s_mul_i32 s4, s1, 3
	s_cselect_b32 s23, s23, 0
	s_cselect_b32 s22, s22, 0x10000
	s_lshl_b32 s3, s1, 1
	s_cmp_lg_u64 s[12:13], 0
	s_wait_alu 0xfffe
	v_add_co_u32 v47, s4, s4, v0
	s_wait_alu 0xf1ff
	v_add_co_ci_u32_e64 v48, null, 0, 0, s4
	s_cselect_b32 s33, -1, 0
	s_lshl_b32 s4, s1, 4
	v_add_co_u32 v66, s3, s3, v0
	v_rcp_f64_e32 v[3:4], v[1:2]
	s_wait_alu 0xf1ff
	v_add_co_ci_u32_e64 v67, null, 0, 0, s3
	s_lshl_b32 s14, s1, 2
	s_delay_alu instid0(TRANS32_DEP_1) | instskip(NEXT) | instid1(VALU_DEP_1)
	v_fma_f64 v[5:6], -v[1:2], v[3:4], 1.0
	v_fma_f64 v[3:4], v[3:4], v[5:6], v[3:4]
	s_delay_alu instid0(VALU_DEP_1) | instskip(NEXT) | instid1(VALU_DEP_1)
	v_fma_f64 v[5:6], -v[1:2], v[3:4], 1.0
	v_fma_f64 v[3:4], v[3:4], v[5:6], v[3:4]
	s_delay_alu instid0(VALU_DEP_1) | instskip(NEXT) | instid1(VALU_DEP_1)
	v_mul_f64_e32 v[5:6], v[7:8], v[3:4]
	v_fma_f64 v[7:8], -v[1:2], v[5:6], v[7:8]
	v_dual_mov_b32 v2, 0 :: v_dual_lshlrev_b32 v1, 3, v0
	s_delay_alu instid0(VALU_DEP_1)
	v_add_co_u32 v39, s5, s24, v1
	s_wait_alu 0xf1ff
	v_add_co_ci_u32_e64 v40, null, s25, 0, s5
	v_add_co_u32 v41, s5, s26, v1
	s_wait_alu 0xf1ff
	v_add_co_ci_u32_e64 v42, null, s27, 0, s5
	;; [unrolled: 3-line block ×4, first 2 shown]
	v_div_fmas_f64 v[3:4], v[7:8], v[3:4], v[5:6]
	v_mad_co_u64_u32 v[5:6], null, s1, 24, v[1:2]
	s_wait_alu 0xfffe
	v_add_co_u32 v7, s4, s4, v1
	s_wait_alu 0xf1ff
	v_add_co_ci_u32_e64 v8, null, 0, 0, s4
	v_add_co_u32 v62, s4, v0, s1
	s_delay_alu instid0(VALU_DEP_4)
	v_add_co_u32 v1, vcc_lo, s24, v5
	s_wait_alu 0xfffd
	v_add_co_ci_u32_e64 v49, null, s25, v6, vcc_lo
	v_add_co_u32 v50, vcc_lo, s26, v5
	s_wait_alu 0xfffd
	v_add_co_ci_u32_e64 v51, null, s27, v6, vcc_lo
	;; [unrolled: 3-line block ×3, first 2 shown]
	v_add_co_u32 v54, vcc_lo, s28, v5
	v_lshlrev_b32_e32 v5, 3, v62
	s_wait_alu 0xfffd
	v_add_co_ci_u32_e64 v55, null, s29, v6, vcc_lo
	v_add_co_u32 v56, vcc_lo, s24, v7
	s_delay_alu instid0(VALU_DEP_3)
	v_add_co_u32 v68, s3, s24, v5
	s_wait_alu 0xfffd
	v_add_co_ci_u32_e64 v57, null, s25, v8, vcc_lo
	v_add_co_u32 v58, vcc_lo, s26, v7
	s_wait_alu 0xf1ff
	v_add_co_ci_u32_e64 v69, null, s25, 0, s3
	v_add_co_u32 v70, s3, s26, v5
	v_div_fixup_f64 v[3:4], v[3:4], v[37:38], v[33:34]
	s_wait_alu 0xfffd
	v_add_co_ci_u32_e64 v59, null, s27, v8, vcc_lo
	v_add_co_u32 v60, vcc_lo, s30, v7
	s_wait_alu 0xf1ff
	v_add_co_ci_u32_e64 v71, null, s27, 0, s3
	v_add_co_u32 v72, s3, s30, v5
	s_wait_alu 0xfffd
	v_add_co_ci_u32_e64 v61, null, s31, v8, vcc_lo
	v_add_co_u32 v63, vcc_lo, s28, v7
	s_wait_alu 0xf1ff
	v_add_co_ci_u32_e64 v73, null, s31, 0, s3
	v_add_co_u32 v74, s3, s28, v5
	s_wait_alu 0xfffd
	v_add_co_ci_u32_e64 v64, null, s29, v8, vcc_lo
	v_add_co_ci_u32_e64 v65, null, 0, 0, s4
	s_wait_alu 0xf1ff
	v_add_co_ci_u32_e64 v75, null, s29, 0, s3
	s_mov_b64 s[24:25], 0
	s_lshl_b32 s26, s1, 5
	s_branch .LBB1_24
.LBB1_23:                               ;   in Loop: Header=BB1_24 Depth=1
	s_wait_alu 0xfffe
	s_or_b32 exec_lo, exec_lo, s1
	v_add_co_u32 v39, vcc_lo, v39, s26
	s_wait_alu 0xfffd
	v_add_co_ci_u32_e64 v40, null, 0, v40, vcc_lo
	v_add_co_u32 v41, vcc_lo, v41, s26
	s_wait_alu 0xfffd
	v_add_co_ci_u32_e64 v42, null, 0, v42, vcc_lo
	;; [unrolled: 3-line block ×13, first 2 shown]
	v_add_co_u32 v70, vcc_lo, v70, s26
	s_add_nc_u64 s[24:25], s[24:25], s[14:15]
	s_wait_alu 0xfffd
	v_add_co_ci_u32_e64 v71, null, 0, v71, vcc_lo
	v_add_co_u32 v72, vcc_lo, v72, s26
	s_wait_alu 0xfffe
	v_cmp_ge_i64_e64 s1, s[24:25], s[20:21]
	s_wait_alu 0xfffd
	v_add_co_ci_u32_e64 v73, null, 0, v73, vcc_lo
	v_add_co_u32 v74, vcc_lo, v74, s26
	s_wait_alu 0xfffd
	v_add_co_ci_u32_e64 v75, null, 0, v75, vcc_lo
	s_and_b32 vcc_lo, exec_lo, s1
	s_wait_alu 0xfffe
	s_cbranch_vccnz .LBB1_82
.LBB1_24:                               ; =>This Inner Loop Header: Depth=1
	s_wait_alu 0xfffe
	v_add_co_u32 v5, s1, v0, s24
	s_wait_alu 0xf1ff
	v_add_co_ci_u32_e64 v6, null, 0, s25, s1
	v_mov_b32_e32 v17, 0
	v_dual_mov_b32 v18, 0 :: v_dual_mov_b32 v23, 0
	s_delay_alu instid0(VALU_DEP_3)
	v_cmp_gt_u64_e64 s1, s[22:23], v[5:6]
	v_mov_b32_e32 v5, 0
	v_mov_b32_e32 v6, 0
	v_mov_b32_e32 v24, 0
	s_and_saveexec_b32 s3, s1
	s_cbranch_execz .LBB1_26
; %bb.25:                               ;   in Loop: Header=BB1_24 Depth=1
	v_add_co_u32 v5, vcc_lo, v39, s6
	s_wait_alu 0xfffd
	v_add_co_ci_u32_e64 v6, null, s7, v40, vcc_lo
	v_add_co_u32 v7, vcc_lo, v41, s6
	s_wait_alu 0xfffd
	v_add_co_ci_u32_e64 v8, null, s7, v42, vcc_lo
	global_load_b64 v[23:24], v[5:6], off
	global_load_b64 v[5:6], v[7:8], off
.LBB1_26:                               ;   in Loop: Header=BB1_24 Depth=1
	s_wait_alu 0xfffe
	s_or_b32 exec_lo, exec_lo, s3
	v_mov_b32_e32 v27, 0
	v_mov_b32_e32 v28, 0
	s_and_saveexec_b32 s3, s1
	s_cbranch_execz .LBB1_28
; %bb.27:                               ;   in Loop: Header=BB1_24 Depth=1
	v_add_co_u32 v7, vcc_lo, v43, s6
	s_wait_alu 0xfffd
	v_add_co_ci_u32_e64 v8, null, s7, v44, vcc_lo
	v_add_co_u32 v9, vcc_lo, v45, s6
	s_wait_alu 0xfffd
	v_add_co_ci_u32_e64 v10, null, s7, v46, vcc_lo
	global_load_b64 v[27:28], v[7:8], off
	global_load_b64 v[17:18], v[9:10], off
.LBB1_28:                               ;   in Loop: Header=BB1_24 Depth=1
	s_wait_alu 0xfffe
	s_or_b32 exec_lo, exec_lo, s3
	v_add_co_u32 v7, vcc_lo, v62, s24
	s_wait_alu 0xfffd
	v_add_co_ci_u32_e64 v8, null, s25, v65, vcc_lo
	v_mov_b32_e32 v31, 0
	v_dual_mov_b32 v32, 0 :: v_dual_mov_b32 v19, 0
	s_delay_alu instid0(VALU_DEP_3)
	v_cmp_gt_u64_e64 s3, s[22:23], v[7:8]
	v_mov_b32_e32 v7, 0
	v_mov_b32_e32 v8, 0
	v_mov_b32_e32 v20, 0
	s_and_saveexec_b32 s4, s3
	s_cbranch_execz .LBB1_30
; %bb.29:                               ;   in Loop: Header=BB1_24 Depth=1
	v_add_co_u32 v7, vcc_lo, v68, s6
	s_wait_alu 0xfffd
	v_add_co_ci_u32_e64 v8, null, s7, v69, vcc_lo
	v_add_co_u32 v9, vcc_lo, v70, s6
	s_wait_alu 0xfffd
	v_add_co_ci_u32_e64 v10, null, s7, v71, vcc_lo
	global_load_b64 v[19:20], v[7:8], off
	global_load_b64 v[7:8], v[9:10], off
.LBB1_30:                               ;   in Loop: Header=BB1_24 Depth=1
	s_wait_alu 0xfffe
	s_or_b32 exec_lo, exec_lo, s4
	v_mov_b32_e32 v37, 0
	v_mov_b32_e32 v38, 0
	s_and_saveexec_b32 s4, s3
	s_cbranch_execz .LBB1_32
; %bb.31:                               ;   in Loop: Header=BB1_24 Depth=1
	v_add_co_u32 v9, vcc_lo, v72, s6
	s_wait_alu 0xfffd
	v_add_co_ci_u32_e64 v10, null, s7, v73, vcc_lo
	v_add_co_u32 v11, vcc_lo, v74, s6
	s_wait_alu 0xfffd
	v_add_co_ci_u32_e64 v12, null, s7, v75, vcc_lo
	global_load_b64 v[37:38], v[9:10], off
	global_load_b64 v[31:32], v[11:12], off
.LBB1_32:                               ;   in Loop: Header=BB1_24 Depth=1
	s_wait_alu 0xfffe
	s_or_b32 exec_lo, exec_lo, s4
	v_add_co_u32 v9, vcc_lo, v66, s24
	s_wait_alu 0xfffd
	v_add_co_ci_u32_e64 v10, null, s25, v67, vcc_lo
	;; [unrolled: 40-line block ×3, first 2 shown]
	v_mov_b32_e32 v21, 0
	v_dual_mov_b32 v22, 0 :: v_dual_mov_b32 v13, 0
	s_delay_alu instid0(VALU_DEP_3)
	v_cmp_gt_u64_e64 s5, s[22:23], v[11:12]
	v_mov_b32_e32 v11, 0
	v_mov_b32_e32 v12, 0
	;; [unrolled: 1-line block ×3, first 2 shown]
	s_and_saveexec_b32 s27, s5
	s_cbranch_execz .LBB1_38
; %bb.37:                               ;   in Loop: Header=BB1_24 Depth=1
	v_add_co_u32 v11, vcc_lo, v1, s6
	s_wait_alu 0xfffd
	v_add_co_ci_u32_e64 v12, null, s7, v49, vcc_lo
	v_add_co_u32 v29, vcc_lo, v50, s6
	s_wait_alu 0xfffd
	v_add_co_ci_u32_e64 v30, null, s7, v51, vcc_lo
	global_load_b64 v[13:14], v[11:12], off
	global_load_b64 v[11:12], v[29:30], off
.LBB1_38:                               ;   in Loop: Header=BB1_24 Depth=1
	s_wait_alu 0xfffe
	s_or_b32 exec_lo, exec_lo, s27
	v_mov_b32_e32 v29, 0
	v_mov_b32_e32 v30, 0
	s_and_saveexec_b32 s27, s5
	s_cbranch_execz .LBB1_40
; %bb.39:                               ;   in Loop: Header=BB1_24 Depth=1
	v_add_co_u32 v21, vcc_lo, v52, s6
	s_wait_alu 0xfffd
	v_add_co_ci_u32_e64 v22, null, s7, v53, vcc_lo
	v_add_co_u32 v76, vcc_lo, v54, s6
	s_wait_alu 0xfffd
	v_add_co_ci_u32_e64 v77, null, s7, v55, vcc_lo
	global_load_b64 v[29:30], v[21:22], off
	global_load_b64 v[21:22], v[76:77], off
.LBB1_40:                               ;   in Loop: Header=BB1_24 Depth=1
	s_wait_alu 0xfffe
	s_or_b32 exec_lo, exec_lo, s27
	s_delay_alu instid0(SALU_CYCLE_1)
	s_and_not1_b32 vcc_lo, exec_lo, s33
	s_wait_alu 0xfffe
	s_cbranch_vccnz .LBB1_42
; %bb.41:                               ;   in Loop: Header=BB1_24 Depth=1
	global_load_b32 v76, v2, s[12:13]
	s_wait_loadcnt 0x0
	v_cvt_f64_f32_e32 v[76:77], v76
	s_delay_alu instid0(VALU_DEP_1) | instskip(NEXT) | instid1(VALU_DEP_1)
	v_div_scale_f64 v[78:79], null, v[76:77], v[76:77], v[5:6]
	v_rcp_f64_e32 v[80:81], v[78:79]
	s_delay_alu instid0(TRANS32_DEP_1) | instskip(NEXT) | instid1(VALU_DEP_1)
	v_fma_f64 v[82:83], -v[78:79], v[80:81], 1.0
	v_fma_f64 v[80:81], v[80:81], v[82:83], v[80:81]
	s_delay_alu instid0(VALU_DEP_1) | instskip(NEXT) | instid1(VALU_DEP_1)
	v_fma_f64 v[82:83], -v[78:79], v[80:81], 1.0
	v_fma_f64 v[80:81], v[80:81], v[82:83], v[80:81]
	v_div_scale_f64 v[82:83], vcc_lo, v[5:6], v[76:77], v[5:6]
	s_delay_alu instid0(VALU_DEP_1) | instskip(NEXT) | instid1(VALU_DEP_1)
	v_mul_f64_e32 v[84:85], v[82:83], v[80:81]
	v_fma_f64 v[78:79], -v[78:79], v[84:85], v[82:83]
	s_wait_alu 0xfffd
	s_delay_alu instid0(VALU_DEP_1) | instskip(NEXT) | instid1(VALU_DEP_1)
	v_div_fmas_f64 v[78:79], v[78:79], v[80:81], v[84:85]
	v_div_fixup_f64 v[5:6], v[78:79], v[76:77], v[5:6]
.LBB1_42:                               ;   in Loop: Header=BB1_24 Depth=1
	s_and_not1_b32 vcc_lo, exec_lo, s33
	s_wait_alu 0xfffe
	s_cbranch_vccnz .LBB1_44
; %bb.43:                               ;   in Loop: Header=BB1_24 Depth=1
	global_load_b32 v76, v2, s[12:13]
	s_wait_loadcnt 0x0
	v_cvt_f64_f32_e32 v[76:77], v76
	s_delay_alu instid0(VALU_DEP_1) | instskip(NEXT) | instid1(VALU_DEP_1)
	v_div_scale_f64 v[78:79], null, v[76:77], v[76:77], v[7:8]
	v_rcp_f64_e32 v[80:81], v[78:79]
	s_delay_alu instid0(TRANS32_DEP_1) | instskip(NEXT) | instid1(VALU_DEP_1)
	v_fma_f64 v[82:83], -v[78:79], v[80:81], 1.0
	v_fma_f64 v[80:81], v[80:81], v[82:83], v[80:81]
	s_delay_alu instid0(VALU_DEP_1) | instskip(NEXT) | instid1(VALU_DEP_1)
	v_fma_f64 v[82:83], -v[78:79], v[80:81], 1.0
	v_fma_f64 v[80:81], v[80:81], v[82:83], v[80:81]
	v_div_scale_f64 v[82:83], vcc_lo, v[7:8], v[76:77], v[7:8]
	s_delay_alu instid0(VALU_DEP_1) | instskip(NEXT) | instid1(VALU_DEP_1)
	v_mul_f64_e32 v[84:85], v[82:83], v[80:81]
	v_fma_f64 v[78:79], -v[78:79], v[84:85], v[82:83]
	s_wait_alu 0xfffd
	s_delay_alu instid0(VALU_DEP_1) | instskip(NEXT) | instid1(VALU_DEP_1)
	v_div_fmas_f64 v[78:79], v[78:79], v[80:81], v[84:85]
	v_div_fixup_f64 v[7:8], v[78:79], v[76:77], v[7:8]
.LBB1_44:                               ;   in Loop: Header=BB1_24 Depth=1
	;; [unrolled: 25-line block ×4, first 2 shown]
	s_wait_loadcnt 0x0
	s_delay_alu instid0(VALU_DEP_1) | instskip(NEXT) | instid1(VALU_DEP_2)
	v_xor_b32_e32 v77, 0x80000000, v6
	v_mov_b32_e32 v76, v5
	s_delay_alu instid0(VALU_DEP_2) | instskip(NEXT) | instid1(VALU_DEP_1)
	v_cndmask_b32_e64 v77, v6, v77, s2
	v_fma_f64 v[78:79], s[16:17], v[23:24], v[76:77]
	s_delay_alu instid0(VALU_DEP_1) | instskip(NEXT) | instid1(VALU_DEP_2)
	v_cndmask_b32_e64 v77, v77, v79, s0
	v_cndmask_b32_e64 v76, v5, v78, s0
	s_delay_alu instid0(VALU_DEP_1) | instskip(SKIP_1) | instid1(VALU_DEP_2)
	v_mul_f64_e32 v[78:79], v[76:77], v[76:77]
	v_fma_f64 v[76:77], -s[8:9], v[76:77], v[76:77]
	v_fma_f64 v[78:79], -s[10:11], v[78:79], v[78:79]
	s_delay_alu instid0(VALU_DEP_2) | instskip(NEXT) | instid1(VALU_DEP_2)
	v_fma_f64 v[27:28], s[8:9], v[27:28], v[76:77]
	v_fma_f64 v[17:18], s[10:11], v[17:18], v[78:79]
	s_and_saveexec_b32 s27, s1
	s_cbranch_execz .LBB1_50
; %bb.49:                               ;   in Loop: Header=BB1_24 Depth=1
	s_delay_alu instid0(VALU_DEP_1) | instskip(SKIP_2) | instid1(VALU_DEP_1)
	v_cmp_gt_f64_e32 vcc_lo, 0x10000000, v[17:18]
	s_wait_alu 0xfffd
	v_cndmask_b32_e64 v76, 0, 0x100, vcc_lo
	v_ldexp_f64 v[76:77], v[17:18], v76
	s_delay_alu instid0(VALU_DEP_1) | instskip(NEXT) | instid1(TRANS32_DEP_1)
	v_rsq_f64_e32 v[78:79], v[76:77]
	v_mul_f64_e32 v[80:81], v[76:77], v[78:79]
	v_mul_f64_e32 v[78:79], 0.5, v[78:79]
	s_delay_alu instid0(VALU_DEP_1) | instskip(NEXT) | instid1(VALU_DEP_1)
	v_fma_f64 v[82:83], -v[78:79], v[80:81], 0.5
	v_fma_f64 v[80:81], v[80:81], v[82:83], v[80:81]
	v_fma_f64 v[78:79], v[78:79], v[82:83], v[78:79]
	s_delay_alu instid0(VALU_DEP_2) | instskip(NEXT) | instid1(VALU_DEP_1)
	v_fma_f64 v[82:83], -v[80:81], v[80:81], v[76:77]
	v_fma_f64 v[80:81], v[82:83], v[78:79], v[80:81]
	s_delay_alu instid0(VALU_DEP_1) | instskip(NEXT) | instid1(VALU_DEP_1)
	v_fma_f64 v[82:83], -v[80:81], v[80:81], v[76:77]
	v_fma_f64 v[78:79], v[82:83], v[78:79], v[80:81]
	v_cndmask_b32_e64 v80, 0, 0xffffff80, vcc_lo
	v_cmp_class_f64_e64 vcc_lo, v[76:77], 0x260
	s_delay_alu instid0(VALU_DEP_2) | instskip(SKIP_1) | instid1(VALU_DEP_1)
	v_ldexp_f64 v[78:79], v[78:79], v80
	s_wait_alu 0xfffd
	v_dual_cndmask_b32 v77, v79, v77 :: v_dual_cndmask_b32 v76, v78, v76
	s_delay_alu instid0(VALU_DEP_1) | instskip(SKIP_1) | instid1(VALU_DEP_2)
	v_div_scale_f64 v[78:79], null, v[35:36], v[35:36], v[76:77]
	v_div_scale_f64 v[84:85], vcc_lo, v[76:77], v[35:36], v[76:77]
	v_rcp_f64_e32 v[80:81], v[78:79]
	s_delay_alu instid0(TRANS32_DEP_1) | instskip(NEXT) | instid1(VALU_DEP_1)
	v_fma_f64 v[82:83], -v[78:79], v[80:81], 1.0
	v_fma_f64 v[80:81], v[80:81], v[82:83], v[80:81]
	s_delay_alu instid0(VALU_DEP_1) | instskip(NEXT) | instid1(VALU_DEP_1)
	v_fma_f64 v[82:83], -v[78:79], v[80:81], 1.0
	v_fma_f64 v[80:81], v[80:81], v[82:83], v[80:81]
	s_delay_alu instid0(VALU_DEP_1) | instskip(NEXT) | instid1(VALU_DEP_1)
	v_mul_f64_e32 v[82:83], v[84:85], v[80:81]
	v_fma_f64 v[78:79], -v[78:79], v[82:83], v[84:85]
	s_wait_alu 0xfffd
	s_delay_alu instid0(VALU_DEP_1) | instskip(NEXT) | instid1(VALU_DEP_1)
	v_div_fmas_f64 v[78:79], v[78:79], v[80:81], v[82:83]
	v_div_fixup_f64 v[76:77], v[78:79], v[35:36], v[76:77]
	v_mul_f64_e32 v[78:79], v[3:4], v[27:28]
	s_delay_alu instid0(VALU_DEP_2) | instskip(NEXT) | instid1(VALU_DEP_1)
	v_add_f64_e32 v[76:77], s[18:19], v[76:77]
	v_div_scale_f64 v[80:81], null, v[76:77], v[76:77], v[78:79]
	s_delay_alu instid0(VALU_DEP_1) | instskip(NEXT) | instid1(TRANS32_DEP_1)
	v_rcp_f64_e32 v[82:83], v[80:81]
	v_fma_f64 v[84:85], -v[80:81], v[82:83], 1.0
	s_delay_alu instid0(VALU_DEP_1) | instskip(NEXT) | instid1(VALU_DEP_1)
	v_fma_f64 v[82:83], v[82:83], v[84:85], v[82:83]
	v_fma_f64 v[84:85], -v[80:81], v[82:83], 1.0
	s_delay_alu instid0(VALU_DEP_1) | instskip(SKIP_1) | instid1(VALU_DEP_1)
	v_fma_f64 v[82:83], v[82:83], v[84:85], v[82:83]
	v_div_scale_f64 v[84:85], vcc_lo, v[78:79], v[76:77], v[78:79]
	v_mul_f64_e32 v[86:87], v[84:85], v[82:83]
	s_delay_alu instid0(VALU_DEP_1) | instskip(SKIP_1) | instid1(VALU_DEP_1)
	v_fma_f64 v[80:81], -v[80:81], v[86:87], v[84:85]
	s_wait_alu 0xfffd
	v_div_fmas_f64 v[80:81], v[80:81], v[82:83], v[86:87]
	s_delay_alu instid0(VALU_DEP_1) | instskip(NEXT) | instid1(VALU_DEP_1)
	v_div_fixup_f64 v[76:77], v[80:81], v[76:77], v[78:79]
	v_add_f64_e64 v[23:24], v[23:24], -v[76:77]
	v_add_co_u32 v76, vcc_lo, v39, s6
	s_wait_alu 0xfffd
	v_add_co_ci_u32_e64 v77, null, s7, v40, vcc_lo
	global_store_b64 v[76:77], v[23:24], off
.LBB1_50:                               ;   in Loop: Header=BB1_24 Depth=1
	s_wait_alu 0xfffe
	s_or_b32 exec_lo, exec_lo, s27
	v_xor_b32_e32 v24, 0x80000000, v8
	v_mov_b32_e32 v23, v7
	s_delay_alu instid0(VALU_DEP_2) | instskip(NEXT) | instid1(VALU_DEP_1)
	v_cndmask_b32_e64 v24, v8, v24, s2
	v_fma_f64 v[76:77], s[16:17], v[19:20], v[23:24]
	s_delay_alu instid0(VALU_DEP_1) | instskip(NEXT) | instid1(VALU_DEP_2)
	v_cndmask_b32_e64 v24, v24, v77, s0
	v_cndmask_b32_e64 v23, v7, v76, s0
	s_delay_alu instid0(VALU_DEP_1) | instskip(SKIP_1) | instid1(VALU_DEP_2)
	v_mul_f64_e32 v[76:77], v[23:24], v[23:24]
	v_fma_f64 v[23:24], -s[8:9], v[23:24], v[23:24]
	v_fma_f64 v[76:77], -s[10:11], v[76:77], v[76:77]
	s_delay_alu instid0(VALU_DEP_2) | instskip(NEXT) | instid1(VALU_DEP_2)
	v_fma_f64 v[37:38], s[8:9], v[37:38], v[23:24]
	v_fma_f64 v[23:24], s[10:11], v[31:32], v[76:77]
	s_and_saveexec_b32 s27, s3
	s_cbranch_execz .LBB1_52
; %bb.51:                               ;   in Loop: Header=BB1_24 Depth=1
	s_delay_alu instid0(VALU_DEP_1) | instskip(SKIP_2) | instid1(VALU_DEP_1)
	v_cmp_gt_f64_e32 vcc_lo, 0x10000000, v[23:24]
	s_wait_alu 0xfffd
	v_cndmask_b32_e64 v31, 0, 0x100, vcc_lo
	v_ldexp_f64 v[31:32], v[23:24], v31
	s_delay_alu instid0(VALU_DEP_1) | instskip(NEXT) | instid1(TRANS32_DEP_1)
	v_rsq_f64_e32 v[76:77], v[31:32]
	v_mul_f64_e32 v[78:79], v[31:32], v[76:77]
	v_mul_f64_e32 v[76:77], 0.5, v[76:77]
	s_delay_alu instid0(VALU_DEP_1) | instskip(NEXT) | instid1(VALU_DEP_1)
	v_fma_f64 v[80:81], -v[76:77], v[78:79], 0.5
	v_fma_f64 v[78:79], v[78:79], v[80:81], v[78:79]
	v_fma_f64 v[76:77], v[76:77], v[80:81], v[76:77]
	s_delay_alu instid0(VALU_DEP_2) | instskip(NEXT) | instid1(VALU_DEP_1)
	v_fma_f64 v[80:81], -v[78:79], v[78:79], v[31:32]
	v_fma_f64 v[78:79], v[80:81], v[76:77], v[78:79]
	s_delay_alu instid0(VALU_DEP_1) | instskip(NEXT) | instid1(VALU_DEP_1)
	v_fma_f64 v[80:81], -v[78:79], v[78:79], v[31:32]
	v_fma_f64 v[76:77], v[80:81], v[76:77], v[78:79]
	v_cndmask_b32_e64 v78, 0, 0xffffff80, vcc_lo
	v_cmp_class_f64_e64 vcc_lo, v[31:32], 0x260
	s_delay_alu instid0(VALU_DEP_2) | instskip(SKIP_1) | instid1(VALU_DEP_1)
	v_ldexp_f64 v[76:77], v[76:77], v78
	s_wait_alu 0xfffd
	v_dual_cndmask_b32 v32, v77, v32 :: v_dual_cndmask_b32 v31, v76, v31
	s_delay_alu instid0(VALU_DEP_1) | instskip(SKIP_1) | instid1(VALU_DEP_2)
	v_div_scale_f64 v[76:77], null, v[35:36], v[35:36], v[31:32]
	v_div_scale_f64 v[82:83], vcc_lo, v[31:32], v[35:36], v[31:32]
	v_rcp_f64_e32 v[78:79], v[76:77]
	s_delay_alu instid0(TRANS32_DEP_1) | instskip(NEXT) | instid1(VALU_DEP_1)
	v_fma_f64 v[80:81], -v[76:77], v[78:79], 1.0
	v_fma_f64 v[78:79], v[78:79], v[80:81], v[78:79]
	s_delay_alu instid0(VALU_DEP_1) | instskip(NEXT) | instid1(VALU_DEP_1)
	v_fma_f64 v[80:81], -v[76:77], v[78:79], 1.0
	v_fma_f64 v[78:79], v[78:79], v[80:81], v[78:79]
	s_delay_alu instid0(VALU_DEP_1) | instskip(NEXT) | instid1(VALU_DEP_1)
	v_mul_f64_e32 v[80:81], v[82:83], v[78:79]
	v_fma_f64 v[76:77], -v[76:77], v[80:81], v[82:83]
	s_wait_alu 0xfffd
	s_delay_alu instid0(VALU_DEP_1) | instskip(NEXT) | instid1(VALU_DEP_1)
	v_div_fmas_f64 v[76:77], v[76:77], v[78:79], v[80:81]
	v_div_fixup_f64 v[31:32], v[76:77], v[35:36], v[31:32]
	v_mul_f64_e32 v[76:77], v[3:4], v[37:38]
	s_delay_alu instid0(VALU_DEP_2) | instskip(NEXT) | instid1(VALU_DEP_1)
	v_add_f64_e32 v[31:32], s[18:19], v[31:32]
	v_div_scale_f64 v[78:79], null, v[31:32], v[31:32], v[76:77]
	s_delay_alu instid0(VALU_DEP_1) | instskip(NEXT) | instid1(TRANS32_DEP_1)
	v_rcp_f64_e32 v[80:81], v[78:79]
	v_fma_f64 v[82:83], -v[78:79], v[80:81], 1.0
	s_delay_alu instid0(VALU_DEP_1) | instskip(NEXT) | instid1(VALU_DEP_1)
	v_fma_f64 v[80:81], v[80:81], v[82:83], v[80:81]
	v_fma_f64 v[82:83], -v[78:79], v[80:81], 1.0
	s_delay_alu instid0(VALU_DEP_1) | instskip(SKIP_1) | instid1(VALU_DEP_1)
	v_fma_f64 v[80:81], v[80:81], v[82:83], v[80:81]
	v_div_scale_f64 v[82:83], vcc_lo, v[76:77], v[31:32], v[76:77]
	v_mul_f64_e32 v[84:85], v[82:83], v[80:81]
	s_delay_alu instid0(VALU_DEP_1) | instskip(SKIP_1) | instid1(VALU_DEP_1)
	v_fma_f64 v[78:79], -v[78:79], v[84:85], v[82:83]
	s_wait_alu 0xfffd
	v_div_fmas_f64 v[78:79], v[78:79], v[80:81], v[84:85]
	s_delay_alu instid0(VALU_DEP_1) | instskip(NEXT) | instid1(VALU_DEP_1)
	v_div_fixup_f64 v[31:32], v[78:79], v[31:32], v[76:77]
	v_add_f64_e64 v[19:20], v[19:20], -v[31:32]
	v_add_co_u32 v31, vcc_lo, v68, s6
	s_wait_alu 0xfffd
	v_add_co_ci_u32_e64 v32, null, s7, v69, vcc_lo
	global_store_b64 v[31:32], v[19:20], off
.LBB1_52:                               ;   in Loop: Header=BB1_24 Depth=1
	s_wait_alu 0xfffe
	s_or_b32 exec_lo, exec_lo, s27
	v_xor_b32_e32 v20, 0x80000000, v10
	v_mov_b32_e32 v19, v9
	s_delay_alu instid0(VALU_DEP_2) | instskip(NEXT) | instid1(VALU_DEP_1)
	v_cndmask_b32_e64 v20, v10, v20, s2
	v_fma_f64 v[31:32], s[16:17], v[15:16], v[19:20]
	s_delay_alu instid0(VALU_DEP_1) | instskip(NEXT) | instid1(VALU_DEP_2)
	v_cndmask_b32_e64 v20, v20, v32, s0
	v_cndmask_b32_e64 v19, v9, v31, s0
	s_delay_alu instid0(VALU_DEP_1) | instskip(SKIP_1) | instid1(VALU_DEP_2)
	v_mul_f64_e32 v[31:32], v[19:20], v[19:20]
	v_fma_f64 v[19:20], -s[8:9], v[19:20], v[19:20]
	v_fma_f64 v[76:77], -s[10:11], v[31:32], v[31:32]
	s_delay_alu instid0(VALU_DEP_2) | instskip(NEXT) | instid1(VALU_DEP_2)
	v_fma_f64 v[31:32], s[8:9], v[33:34], v[19:20]
	v_fma_f64 v[19:20], s[10:11], v[25:26], v[76:77]
	s_and_saveexec_b32 s27, s4
	s_cbranch_execz .LBB1_54
; %bb.53:                               ;   in Loop: Header=BB1_24 Depth=1
	s_delay_alu instid0(VALU_DEP_1) | instskip(SKIP_2) | instid1(VALU_DEP_1)
	v_cmp_gt_f64_e32 vcc_lo, 0x10000000, v[19:20]
	s_wait_alu 0xfffd
	v_cndmask_b32_e64 v25, 0, 0x100, vcc_lo
	v_ldexp_f64 v[25:26], v[19:20], v25
	s_delay_alu instid0(VALU_DEP_1) | instskip(NEXT) | instid1(TRANS32_DEP_1)
	v_rsq_f64_e32 v[33:34], v[25:26]
	v_mul_f64_e32 v[76:77], v[25:26], v[33:34]
	v_mul_f64_e32 v[33:34], 0.5, v[33:34]
	s_delay_alu instid0(VALU_DEP_1) | instskip(NEXT) | instid1(VALU_DEP_1)
	v_fma_f64 v[78:79], -v[33:34], v[76:77], 0.5
	v_fma_f64 v[76:77], v[76:77], v[78:79], v[76:77]
	v_fma_f64 v[33:34], v[33:34], v[78:79], v[33:34]
	s_delay_alu instid0(VALU_DEP_2) | instskip(NEXT) | instid1(VALU_DEP_1)
	v_fma_f64 v[78:79], -v[76:77], v[76:77], v[25:26]
	v_fma_f64 v[76:77], v[78:79], v[33:34], v[76:77]
	s_delay_alu instid0(VALU_DEP_1) | instskip(NEXT) | instid1(VALU_DEP_1)
	v_fma_f64 v[78:79], -v[76:77], v[76:77], v[25:26]
	v_fma_f64 v[33:34], v[78:79], v[33:34], v[76:77]
	v_cndmask_b32_e64 v76, 0, 0xffffff80, vcc_lo
	v_cmp_class_f64_e64 vcc_lo, v[25:26], 0x260
	s_delay_alu instid0(VALU_DEP_2) | instskip(SKIP_1) | instid1(VALU_DEP_1)
	v_ldexp_f64 v[33:34], v[33:34], v76
	s_wait_alu 0xfffd
	v_dual_cndmask_b32 v26, v34, v26 :: v_dual_cndmask_b32 v25, v33, v25
	s_delay_alu instid0(VALU_DEP_1) | instskip(SKIP_1) | instid1(VALU_DEP_2)
	v_div_scale_f64 v[33:34], null, v[35:36], v[35:36], v[25:26]
	v_div_scale_f64 v[80:81], vcc_lo, v[25:26], v[35:36], v[25:26]
	v_rcp_f64_e32 v[76:77], v[33:34]
	s_delay_alu instid0(TRANS32_DEP_1) | instskip(NEXT) | instid1(VALU_DEP_1)
	v_fma_f64 v[78:79], -v[33:34], v[76:77], 1.0
	v_fma_f64 v[76:77], v[76:77], v[78:79], v[76:77]
	s_delay_alu instid0(VALU_DEP_1) | instskip(NEXT) | instid1(VALU_DEP_1)
	v_fma_f64 v[78:79], -v[33:34], v[76:77], 1.0
	v_fma_f64 v[76:77], v[76:77], v[78:79], v[76:77]
	s_delay_alu instid0(VALU_DEP_1) | instskip(NEXT) | instid1(VALU_DEP_1)
	v_mul_f64_e32 v[78:79], v[80:81], v[76:77]
	v_fma_f64 v[33:34], -v[33:34], v[78:79], v[80:81]
	s_wait_alu 0xfffd
	s_delay_alu instid0(VALU_DEP_1) | instskip(NEXT) | instid1(VALU_DEP_1)
	v_div_fmas_f64 v[33:34], v[33:34], v[76:77], v[78:79]
	v_div_fixup_f64 v[25:26], v[33:34], v[35:36], v[25:26]
	v_mul_f64_e32 v[33:34], v[3:4], v[31:32]
	s_delay_alu instid0(VALU_DEP_2) | instskip(NEXT) | instid1(VALU_DEP_1)
	v_add_f64_e32 v[25:26], s[18:19], v[25:26]
	v_div_scale_f64 v[76:77], null, v[25:26], v[25:26], v[33:34]
	s_delay_alu instid0(VALU_DEP_1) | instskip(NEXT) | instid1(TRANS32_DEP_1)
	v_rcp_f64_e32 v[78:79], v[76:77]
	v_fma_f64 v[80:81], -v[76:77], v[78:79], 1.0
	s_delay_alu instid0(VALU_DEP_1) | instskip(NEXT) | instid1(VALU_DEP_1)
	v_fma_f64 v[78:79], v[78:79], v[80:81], v[78:79]
	v_fma_f64 v[80:81], -v[76:77], v[78:79], 1.0
	s_delay_alu instid0(VALU_DEP_1) | instskip(SKIP_1) | instid1(VALU_DEP_1)
	v_fma_f64 v[78:79], v[78:79], v[80:81], v[78:79]
	v_div_scale_f64 v[80:81], vcc_lo, v[33:34], v[25:26], v[33:34]
	v_mul_f64_e32 v[82:83], v[80:81], v[78:79]
	s_delay_alu instid0(VALU_DEP_1) | instskip(SKIP_1) | instid1(VALU_DEP_1)
	v_fma_f64 v[76:77], -v[76:77], v[82:83], v[80:81]
	s_wait_alu 0xfffd
	v_div_fmas_f64 v[76:77], v[76:77], v[78:79], v[82:83]
	s_delay_alu instid0(VALU_DEP_1) | instskip(NEXT) | instid1(VALU_DEP_1)
	v_div_fixup_f64 v[25:26], v[76:77], v[25:26], v[33:34]
	v_add_f64_e64 v[15:16], v[15:16], -v[25:26]
	v_add_co_u32 v25, vcc_lo, v56, s6
	s_wait_alu 0xfffd
	v_add_co_ci_u32_e64 v26, null, s7, v57, vcc_lo
	global_store_b64 v[25:26], v[15:16], off
.LBB1_54:                               ;   in Loop: Header=BB1_24 Depth=1
	s_wait_alu 0xfffe
	s_or_b32 exec_lo, exec_lo, s27
	v_xor_b32_e32 v16, 0x80000000, v12
	v_mov_b32_e32 v15, v11
	s_delay_alu instid0(VALU_DEP_2) | instskip(NEXT) | instid1(VALU_DEP_1)
	v_cndmask_b32_e64 v16, v12, v16, s2
	v_fma_f64 v[25:26], s[16:17], v[13:14], v[15:16]
	s_delay_alu instid0(VALU_DEP_1) | instskip(NEXT) | instid1(VALU_DEP_2)
	v_cndmask_b32_e64 v16, v16, v26, s0
	v_cndmask_b32_e64 v15, v11, v25, s0
	s_delay_alu instid0(VALU_DEP_1) | instskip(SKIP_1) | instid1(VALU_DEP_2)
	v_mul_f64_e32 v[25:26], v[15:16], v[15:16]
	v_fma_f64 v[15:16], -s[8:9], v[15:16], v[15:16]
	v_fma_f64 v[33:34], -s[10:11], v[25:26], v[25:26]
	s_delay_alu instid0(VALU_DEP_2) | instskip(NEXT) | instid1(VALU_DEP_2)
	v_fma_f64 v[25:26], s[8:9], v[29:30], v[15:16]
	v_fma_f64 v[15:16], s[10:11], v[21:22], v[33:34]
	s_and_saveexec_b32 s27, s5
	s_cbranch_execz .LBB1_56
; %bb.55:                               ;   in Loop: Header=BB1_24 Depth=1
	s_delay_alu instid0(VALU_DEP_1) | instskip(SKIP_2) | instid1(VALU_DEP_1)
	v_cmp_gt_f64_e32 vcc_lo, 0x10000000, v[15:16]
	s_wait_alu 0xfffd
	v_cndmask_b32_e64 v21, 0, 0x100, vcc_lo
	v_ldexp_f64 v[21:22], v[15:16], v21
	s_delay_alu instid0(VALU_DEP_1) | instskip(NEXT) | instid1(TRANS32_DEP_1)
	v_rsq_f64_e32 v[29:30], v[21:22]
	v_mul_f64_e32 v[33:34], v[21:22], v[29:30]
	v_mul_f64_e32 v[29:30], 0.5, v[29:30]
	s_delay_alu instid0(VALU_DEP_1) | instskip(NEXT) | instid1(VALU_DEP_1)
	v_fma_f64 v[76:77], -v[29:30], v[33:34], 0.5
	v_fma_f64 v[33:34], v[33:34], v[76:77], v[33:34]
	v_fma_f64 v[29:30], v[29:30], v[76:77], v[29:30]
	s_delay_alu instid0(VALU_DEP_2) | instskip(NEXT) | instid1(VALU_DEP_1)
	v_fma_f64 v[76:77], -v[33:34], v[33:34], v[21:22]
	v_fma_f64 v[33:34], v[76:77], v[29:30], v[33:34]
	s_delay_alu instid0(VALU_DEP_1) | instskip(NEXT) | instid1(VALU_DEP_1)
	v_fma_f64 v[76:77], -v[33:34], v[33:34], v[21:22]
	v_fma_f64 v[29:30], v[76:77], v[29:30], v[33:34]
	v_cndmask_b32_e64 v33, 0, 0xffffff80, vcc_lo
	v_cmp_class_f64_e64 vcc_lo, v[21:22], 0x260
	s_delay_alu instid0(VALU_DEP_2) | instskip(SKIP_1) | instid1(VALU_DEP_1)
	v_ldexp_f64 v[29:30], v[29:30], v33
	s_wait_alu 0xfffd
	v_dual_cndmask_b32 v22, v30, v22 :: v_dual_cndmask_b32 v21, v29, v21
	s_delay_alu instid0(VALU_DEP_1) | instskip(SKIP_1) | instid1(VALU_DEP_2)
	v_div_scale_f64 v[29:30], null, v[35:36], v[35:36], v[21:22]
	v_div_scale_f64 v[78:79], vcc_lo, v[21:22], v[35:36], v[21:22]
	v_rcp_f64_e32 v[33:34], v[29:30]
	s_delay_alu instid0(TRANS32_DEP_1) | instskip(NEXT) | instid1(VALU_DEP_1)
	v_fma_f64 v[76:77], -v[29:30], v[33:34], 1.0
	v_fma_f64 v[33:34], v[33:34], v[76:77], v[33:34]
	s_delay_alu instid0(VALU_DEP_1) | instskip(NEXT) | instid1(VALU_DEP_1)
	v_fma_f64 v[76:77], -v[29:30], v[33:34], 1.0
	v_fma_f64 v[33:34], v[33:34], v[76:77], v[33:34]
	s_delay_alu instid0(VALU_DEP_1) | instskip(NEXT) | instid1(VALU_DEP_1)
	v_mul_f64_e32 v[76:77], v[78:79], v[33:34]
	v_fma_f64 v[29:30], -v[29:30], v[76:77], v[78:79]
	s_wait_alu 0xfffd
	s_delay_alu instid0(VALU_DEP_1) | instskip(NEXT) | instid1(VALU_DEP_1)
	v_div_fmas_f64 v[29:30], v[29:30], v[33:34], v[76:77]
	v_div_fixup_f64 v[21:22], v[29:30], v[35:36], v[21:22]
	v_mul_f64_e32 v[29:30], v[3:4], v[25:26]
	s_delay_alu instid0(VALU_DEP_2) | instskip(NEXT) | instid1(VALU_DEP_1)
	v_add_f64_e32 v[21:22], s[18:19], v[21:22]
	v_div_scale_f64 v[33:34], null, v[21:22], v[21:22], v[29:30]
	s_delay_alu instid0(VALU_DEP_1) | instskip(NEXT) | instid1(TRANS32_DEP_1)
	v_rcp_f64_e32 v[76:77], v[33:34]
	v_fma_f64 v[78:79], -v[33:34], v[76:77], 1.0
	s_delay_alu instid0(VALU_DEP_1) | instskip(NEXT) | instid1(VALU_DEP_1)
	v_fma_f64 v[76:77], v[76:77], v[78:79], v[76:77]
	v_fma_f64 v[78:79], -v[33:34], v[76:77], 1.0
	s_delay_alu instid0(VALU_DEP_1) | instskip(SKIP_1) | instid1(VALU_DEP_1)
	v_fma_f64 v[76:77], v[76:77], v[78:79], v[76:77]
	v_div_scale_f64 v[78:79], vcc_lo, v[29:30], v[21:22], v[29:30]
	v_mul_f64_e32 v[80:81], v[78:79], v[76:77]
	s_delay_alu instid0(VALU_DEP_1) | instskip(SKIP_1) | instid1(VALU_DEP_1)
	v_fma_f64 v[33:34], -v[33:34], v[80:81], v[78:79]
	s_wait_alu 0xfffd
	v_div_fmas_f64 v[33:34], v[33:34], v[76:77], v[80:81]
	s_delay_alu instid0(VALU_DEP_1) | instskip(NEXT) | instid1(VALU_DEP_1)
	v_div_fixup_f64 v[21:22], v[33:34], v[21:22], v[29:30]
	v_add_f64_e64 v[13:14], v[13:14], -v[21:22]
	v_add_co_u32 v21, vcc_lo, v1, s6
	s_wait_alu 0xfffd
	v_add_co_ci_u32_e64 v22, null, s7, v49, vcc_lo
	global_store_b64 v[21:22], v[13:14], off
.LBB1_56:                               ;   in Loop: Header=BB1_24 Depth=1
	s_wait_alu 0xfffe
	s_or_b32 exec_lo, exec_lo, s27
	s_delay_alu instid0(SALU_CYCLE_1)
	s_and_not1_b32 vcc_lo, exec_lo, s33
	s_wait_alu 0xfffe
	s_cbranch_vccnz .LBB1_63
; %bb.57:                               ;   in Loop: Header=BB1_24 Depth=1
	s_and_saveexec_b32 s27, s1
	s_cbranch_execnz .LBB1_79
; %bb.58:                               ;   in Loop: Header=BB1_24 Depth=1
	s_wait_alu 0xfffe
	s_or_b32 exec_lo, exec_lo, s27
	s_and_saveexec_b32 s27, s3
	s_cbranch_execnz .LBB1_80
.LBB1_59:                               ;   in Loop: Header=BB1_24 Depth=1
	s_wait_alu 0xfffe
	s_or_b32 exec_lo, exec_lo, s27
	s_and_saveexec_b32 s27, s4
	s_cbranch_execnz .LBB1_81
.LBB1_60:                               ;   in Loop: Header=BB1_24 Depth=1
	s_wait_alu 0xfffe
	s_or_b32 exec_lo, exec_lo, s27
	s_and_saveexec_b32 s27, s5
	s_cbranch_execz .LBB1_62
.LBB1_61:                               ;   in Loop: Header=BB1_24 Depth=1
	v_add_co_u32 v5, vcc_lo, v50, s6
	s_wait_alu 0xfffd
	v_add_co_ci_u32_e64 v6, null, s7, v51, vcc_lo
	global_store_b64 v[5:6], v[11:12], off
.LBB1_62:                               ;   in Loop: Header=BB1_24 Depth=1
	s_wait_alu 0xfffe
	s_or_b32 exec_lo, exec_lo, s27
.LBB1_63:                               ;   in Loop: Header=BB1_24 Depth=1
	s_and_saveexec_b32 s27, s1
	s_cbranch_execnz .LBB1_71
; %bb.64:                               ;   in Loop: Header=BB1_24 Depth=1
	s_wait_alu 0xfffe
	s_or_b32 exec_lo, exec_lo, s27
	s_and_saveexec_b32 s27, s3
	s_cbranch_execnz .LBB1_72
.LBB1_65:                               ;   in Loop: Header=BB1_24 Depth=1
	s_wait_alu 0xfffe
	s_or_b32 exec_lo, exec_lo, s27
	s_and_saveexec_b32 s27, s4
	s_cbranch_execnz .LBB1_73
.LBB1_66:                               ;   in Loop: Header=BB1_24 Depth=1
	s_wait_alu 0xfffe
	s_or_b32 exec_lo, exec_lo, s27
	s_and_saveexec_b32 s27, s5
	s_cbranch_execnz .LBB1_74
.LBB1_67:                               ;   in Loop: Header=BB1_24 Depth=1
	s_wait_alu 0xfffe
	s_or_b32 exec_lo, exec_lo, s27
	s_and_saveexec_b32 s27, s1
	s_cbranch_execnz .LBB1_75
.LBB1_68:                               ;   in Loop: Header=BB1_24 Depth=1
	s_wait_alu 0xfffe
	s_or_b32 exec_lo, exec_lo, s27
	s_and_saveexec_b32 s1, s3
	s_cbranch_execnz .LBB1_76
.LBB1_69:                               ;   in Loop: Header=BB1_24 Depth=1
	s_wait_alu 0xfffe
	s_or_b32 exec_lo, exec_lo, s1
	s_and_saveexec_b32 s1, s4
	s_cbranch_execnz .LBB1_77
.LBB1_70:                               ;   in Loop: Header=BB1_24 Depth=1
	s_wait_alu 0xfffe
	s_or_b32 exec_lo, exec_lo, s1
	s_and_saveexec_b32 s1, s5
	s_cbranch_execz .LBB1_23
	s_branch .LBB1_78
.LBB1_71:                               ;   in Loop: Header=BB1_24 Depth=1
	v_add_co_u32 v5, vcc_lo, v43, s6
	s_wait_alu 0xfffd
	v_add_co_ci_u32_e64 v6, null, s7, v44, vcc_lo
	global_store_b64 v[5:6], v[27:28], off
	s_wait_alu 0xfffe
	s_or_b32 exec_lo, exec_lo, s27
	s_and_saveexec_b32 s27, s3
	s_cbranch_execz .LBB1_65
.LBB1_72:                               ;   in Loop: Header=BB1_24 Depth=1
	v_add_co_u32 v5, vcc_lo, v72, s6
	s_wait_alu 0xfffd
	v_add_co_ci_u32_e64 v6, null, s7, v73, vcc_lo
	global_store_b64 v[5:6], v[37:38], off
	s_wait_alu 0xfffe
	s_or_b32 exec_lo, exec_lo, s27
	s_and_saveexec_b32 s27, s4
	s_cbranch_execz .LBB1_66
.LBB1_73:                               ;   in Loop: Header=BB1_24 Depth=1
	v_add_co_u32 v5, vcc_lo, v60, s6
	s_wait_alu 0xfffd
	v_add_co_ci_u32_e64 v6, null, s7, v61, vcc_lo
	global_store_b64 v[5:6], v[31:32], off
	s_wait_alu 0xfffe
	s_or_b32 exec_lo, exec_lo, s27
	s_and_saveexec_b32 s27, s5
	s_cbranch_execz .LBB1_67
.LBB1_74:                               ;   in Loop: Header=BB1_24 Depth=1
	v_add_co_u32 v5, vcc_lo, v52, s6
	s_wait_alu 0xfffd
	v_add_co_ci_u32_e64 v6, null, s7, v53, vcc_lo
	global_store_b64 v[5:6], v[25:26], off
	s_wait_alu 0xfffe
	s_or_b32 exec_lo, exec_lo, s27
	s_and_saveexec_b32 s27, s1
	s_cbranch_execz .LBB1_68
.LBB1_75:                               ;   in Loop: Header=BB1_24 Depth=1
	v_add_co_u32 v5, vcc_lo, v45, s6
	s_wait_alu 0xfffd
	v_add_co_ci_u32_e64 v6, null, s7, v46, vcc_lo
	global_store_b64 v[5:6], v[17:18], off
	s_wait_alu 0xfffe
	s_or_b32 exec_lo, exec_lo, s27
	s_and_saveexec_b32 s1, s3
	s_cbranch_execz .LBB1_69
.LBB1_76:                               ;   in Loop: Header=BB1_24 Depth=1
	v_add_co_u32 v5, vcc_lo, v74, s6
	s_wait_alu 0xfffd
	v_add_co_ci_u32_e64 v6, null, s7, v75, vcc_lo
	global_store_b64 v[5:6], v[23:24], off
	s_wait_alu 0xfffe
	s_or_b32 exec_lo, exec_lo, s1
	s_and_saveexec_b32 s1, s4
	s_cbranch_execz .LBB1_70
.LBB1_77:                               ;   in Loop: Header=BB1_24 Depth=1
	v_add_co_u32 v5, vcc_lo, v63, s6
	s_wait_alu 0xfffd
	v_add_co_ci_u32_e64 v6, null, s7, v64, vcc_lo
	global_store_b64 v[5:6], v[19:20], off
	s_wait_alu 0xfffe
	s_or_b32 exec_lo, exec_lo, s1
	s_and_saveexec_b32 s1, s5
	s_cbranch_execz .LBB1_23
.LBB1_78:                               ;   in Loop: Header=BB1_24 Depth=1
	v_add_co_u32 v5, vcc_lo, v54, s6
	s_wait_alu 0xfffd
	v_add_co_ci_u32_e64 v6, null, s7, v55, vcc_lo
	global_store_b64 v[5:6], v[15:16], off
	s_branch .LBB1_23
.LBB1_79:                               ;   in Loop: Header=BB1_24 Depth=1
	v_add_co_u32 v13, vcc_lo, v41, s6
	s_wait_alu 0xfffd
	v_add_co_ci_u32_e64 v14, null, s7, v42, vcc_lo
	global_store_b64 v[13:14], v[5:6], off
	s_wait_alu 0xfffe
	s_or_b32 exec_lo, exec_lo, s27
	s_and_saveexec_b32 s27, s3
	s_cbranch_execz .LBB1_59
.LBB1_80:                               ;   in Loop: Header=BB1_24 Depth=1
	v_add_co_u32 v5, vcc_lo, v70, s6
	s_wait_alu 0xfffd
	v_add_co_ci_u32_e64 v6, null, s7, v71, vcc_lo
	global_store_b64 v[5:6], v[7:8], off
	s_wait_alu 0xfffe
	s_or_b32 exec_lo, exec_lo, s27
	s_and_saveexec_b32 s27, s4
	s_cbranch_execz .LBB1_60
.LBB1_81:                               ;   in Loop: Header=BB1_24 Depth=1
	v_add_co_u32 v5, vcc_lo, v58, s6
	s_wait_alu 0xfffd
	v_add_co_ci_u32_e64 v6, null, s7, v59, vcc_lo
	global_store_b64 v[5:6], v[9:10], off
	s_wait_alu 0xfffe
	s_or_b32 exec_lo, exec_lo, s27
	s_and_saveexec_b32 s27, s5
	s_cbranch_execnz .LBB1_61
	s_branch .LBB1_62
.LBB1_82:
	s_endpgm
	.section	.rodata,"a",@progbits
	.p2align	6, 0x0
	.amdhsa_kernel _ZN2at6native12_GLOBAL__N_125multi_tensor_apply_kernelINS1_32FusedOptimizerTensorListMetadataILi4EEENS1_20FusedAdamMathFunctorIdLi4ELNS0_9ADAM_MODEE0ELb0EEEJPKfdddddbS9_S9_EEEvT_T0_DpT1_
		.amdhsa_group_segment_fixed_size 0
		.amdhsa_private_segment_fixed_size 0
		.amdhsa_kernarg_size 3672
		.amdhsa_user_sgpr_count 2
		.amdhsa_user_sgpr_dispatch_ptr 0
		.amdhsa_user_sgpr_queue_ptr 0
		.amdhsa_user_sgpr_kernarg_segment_ptr 1
		.amdhsa_user_sgpr_dispatch_id 0
		.amdhsa_user_sgpr_private_segment_size 0
		.amdhsa_wavefront_size32 1
		.amdhsa_uses_dynamic_stack 0
		.amdhsa_enable_private_segment 0
		.amdhsa_system_sgpr_workgroup_id_x 1
		.amdhsa_system_sgpr_workgroup_id_y 0
		.amdhsa_system_sgpr_workgroup_id_z 0
		.amdhsa_system_sgpr_workgroup_info 0
		.amdhsa_system_vgpr_workitem_id 0
		.amdhsa_next_free_vgpr 93
		.amdhsa_next_free_sgpr 78
		.amdhsa_reserve_vcc 1
		.amdhsa_float_round_mode_32 0
		.amdhsa_float_round_mode_16_64 0
		.amdhsa_float_denorm_mode_32 3
		.amdhsa_float_denorm_mode_16_64 3
		.amdhsa_fp16_overflow 0
		.amdhsa_workgroup_processor_mode 1
		.amdhsa_memory_ordered 1
		.amdhsa_forward_progress 1
		.amdhsa_inst_pref_size 101
		.amdhsa_round_robin_scheduling 0
		.amdhsa_exception_fp_ieee_invalid_op 0
		.amdhsa_exception_fp_denorm_src 0
		.amdhsa_exception_fp_ieee_div_zero 0
		.amdhsa_exception_fp_ieee_overflow 0
		.amdhsa_exception_fp_ieee_underflow 0
		.amdhsa_exception_fp_ieee_inexact 0
		.amdhsa_exception_int_div_zero 0
	.end_amdhsa_kernel
	.section	.text._ZN2at6native12_GLOBAL__N_125multi_tensor_apply_kernelINS1_32FusedOptimizerTensorListMetadataILi4EEENS1_20FusedAdamMathFunctorIdLi4ELNS0_9ADAM_MODEE0ELb0EEEJPKfdddddbS9_S9_EEEvT_T0_DpT1_,"axG",@progbits,_ZN2at6native12_GLOBAL__N_125multi_tensor_apply_kernelINS1_32FusedOptimizerTensorListMetadataILi4EEENS1_20FusedAdamMathFunctorIdLi4ELNS0_9ADAM_MODEE0ELb0EEEJPKfdddddbS9_S9_EEEvT_T0_DpT1_,comdat
.Lfunc_end1:
	.size	_ZN2at6native12_GLOBAL__N_125multi_tensor_apply_kernelINS1_32FusedOptimizerTensorListMetadataILi4EEENS1_20FusedAdamMathFunctorIdLi4ELNS0_9ADAM_MODEE0ELb0EEEJPKfdddddbS9_S9_EEEvT_T0_DpT1_, .Lfunc_end1-_ZN2at6native12_GLOBAL__N_125multi_tensor_apply_kernelINS1_32FusedOptimizerTensorListMetadataILi4EEENS1_20FusedAdamMathFunctorIdLi4ELNS0_9ADAM_MODEE0ELb0EEEJPKfdddddbS9_S9_EEEvT_T0_DpT1_
                                        ; -- End function
	.set _ZN2at6native12_GLOBAL__N_125multi_tensor_apply_kernelINS1_32FusedOptimizerTensorListMetadataILi4EEENS1_20FusedAdamMathFunctorIdLi4ELNS0_9ADAM_MODEE0ELb0EEEJPKfdddddbS9_S9_EEEvT_T0_DpT1_.num_vgpr, 93
	.set _ZN2at6native12_GLOBAL__N_125multi_tensor_apply_kernelINS1_32FusedOptimizerTensorListMetadataILi4EEENS1_20FusedAdamMathFunctorIdLi4ELNS0_9ADAM_MODEE0ELb0EEEJPKfdddddbS9_S9_EEEvT_T0_DpT1_.num_agpr, 0
	.set _ZN2at6native12_GLOBAL__N_125multi_tensor_apply_kernelINS1_32FusedOptimizerTensorListMetadataILi4EEENS1_20FusedAdamMathFunctorIdLi4ELNS0_9ADAM_MODEE0ELb0EEEJPKfdddddbS9_S9_EEEvT_T0_DpT1_.numbered_sgpr, 78
	.set _ZN2at6native12_GLOBAL__N_125multi_tensor_apply_kernelINS1_32FusedOptimizerTensorListMetadataILi4EEENS1_20FusedAdamMathFunctorIdLi4ELNS0_9ADAM_MODEE0ELb0EEEJPKfdddddbS9_S9_EEEvT_T0_DpT1_.num_named_barrier, 0
	.set _ZN2at6native12_GLOBAL__N_125multi_tensor_apply_kernelINS1_32FusedOptimizerTensorListMetadataILi4EEENS1_20FusedAdamMathFunctorIdLi4ELNS0_9ADAM_MODEE0ELb0EEEJPKfdddddbS9_S9_EEEvT_T0_DpT1_.private_seg_size, 0
	.set _ZN2at6native12_GLOBAL__N_125multi_tensor_apply_kernelINS1_32FusedOptimizerTensorListMetadataILi4EEENS1_20FusedAdamMathFunctorIdLi4ELNS0_9ADAM_MODEE0ELb0EEEJPKfdddddbS9_S9_EEEvT_T0_DpT1_.uses_vcc, 1
	.set _ZN2at6native12_GLOBAL__N_125multi_tensor_apply_kernelINS1_32FusedOptimizerTensorListMetadataILi4EEENS1_20FusedAdamMathFunctorIdLi4ELNS0_9ADAM_MODEE0ELb0EEEJPKfdddddbS9_S9_EEEvT_T0_DpT1_.uses_flat_scratch, 0
	.set _ZN2at6native12_GLOBAL__N_125multi_tensor_apply_kernelINS1_32FusedOptimizerTensorListMetadataILi4EEENS1_20FusedAdamMathFunctorIdLi4ELNS0_9ADAM_MODEE0ELb0EEEJPKfdddddbS9_S9_EEEvT_T0_DpT1_.has_dyn_sized_stack, 0
	.set _ZN2at6native12_GLOBAL__N_125multi_tensor_apply_kernelINS1_32FusedOptimizerTensorListMetadataILi4EEENS1_20FusedAdamMathFunctorIdLi4ELNS0_9ADAM_MODEE0ELb0EEEJPKfdddddbS9_S9_EEEvT_T0_DpT1_.has_recursion, 0
	.set _ZN2at6native12_GLOBAL__N_125multi_tensor_apply_kernelINS1_32FusedOptimizerTensorListMetadataILi4EEENS1_20FusedAdamMathFunctorIdLi4ELNS0_9ADAM_MODEE0ELb0EEEJPKfdddddbS9_S9_EEEvT_T0_DpT1_.has_indirect_call, 0
	.section	.AMDGPU.csdata,"",@progbits
; Kernel info:
; codeLenInByte = 12848
; TotalNumSgprs: 80
; NumVgprs: 93
; ScratchSize: 0
; MemoryBound: 0
; FloatMode: 240
; IeeeMode: 1
; LDSByteSize: 0 bytes/workgroup (compile time only)
; SGPRBlocks: 0
; VGPRBlocks: 11
; NumSGPRsForWavesPerEU: 80
; NumVGPRsForWavesPerEU: 93
; Occupancy: 16
; WaveLimiterHint : 0
; COMPUTE_PGM_RSRC2:SCRATCH_EN: 0
; COMPUTE_PGM_RSRC2:USER_SGPR: 2
; COMPUTE_PGM_RSRC2:TRAP_HANDLER: 0
; COMPUTE_PGM_RSRC2:TGID_X_EN: 1
; COMPUTE_PGM_RSRC2:TGID_Y_EN: 0
; COMPUTE_PGM_RSRC2:TGID_Z_EN: 0
; COMPUTE_PGM_RSRC2:TIDIG_COMP_CNT: 0
	.section	.text._ZN2at6native12_GLOBAL__N_125multi_tensor_apply_kernelINS1_32FusedOptimizerTensorListMetadataILi4EEENS1_20FusedAdamMathFunctorIfLi4ELNS0_9ADAM_MODEE0ELb0EEEJPKfdddddbS9_S9_EEEvT_T0_DpT1_,"axG",@progbits,_ZN2at6native12_GLOBAL__N_125multi_tensor_apply_kernelINS1_32FusedOptimizerTensorListMetadataILi4EEENS1_20FusedAdamMathFunctorIfLi4ELNS0_9ADAM_MODEE0ELb0EEEJPKfdddddbS9_S9_EEEvT_T0_DpT1_,comdat
	.globl	_ZN2at6native12_GLOBAL__N_125multi_tensor_apply_kernelINS1_32FusedOptimizerTensorListMetadataILi4EEENS1_20FusedAdamMathFunctorIfLi4ELNS0_9ADAM_MODEE0ELb0EEEJPKfdddddbS9_S9_EEEvT_T0_DpT1_ ; -- Begin function _ZN2at6native12_GLOBAL__N_125multi_tensor_apply_kernelINS1_32FusedOptimizerTensorListMetadataILi4EEENS1_20FusedAdamMathFunctorIfLi4ELNS0_9ADAM_MODEE0ELb0EEEJPKfdddddbS9_S9_EEEvT_T0_DpT1_
	.p2align	8
	.type	_ZN2at6native12_GLOBAL__N_125multi_tensor_apply_kernelINS1_32FusedOptimizerTensorListMetadataILi4EEENS1_20FusedAdamMathFunctorIfLi4ELNS0_9ADAM_MODEE0ELb0EEEJPKfdddddbS9_S9_EEEvT_T0_DpT1_,@function
_ZN2at6native12_GLOBAL__N_125multi_tensor_apply_kernelINS1_32FusedOptimizerTensorListMetadataILi4EEENS1_20FusedAdamMathFunctorIfLi4ELNS0_9ADAM_MODEE0ELb0EEEJPKfdddddbS9_S9_EEEvT_T0_DpT1_: ; @_ZN2at6native12_GLOBAL__N_125multi_tensor_apply_kernelINS1_32FusedOptimizerTensorListMetadataILi4EEENS1_20FusedAdamMathFunctorIfLi4ELNS0_9ADAM_MODEE0ELb0EEEJPKfdddddbS9_S9_EEEvT_T0_DpT1_
; %bb.0:
	v_mov_b32_e32 v1, ttmp9
	s_mov_b32 s3, 0
	global_load_u8 v1, v1, s[0:1] offset:1728
	s_clause 0x1
	s_load_b256 s[4:11], s[0:1], 0xd10
	s_load_b128 s[16:19], s[0:1], 0xd30
	s_wait_kmcnt 0x0
	s_cmp_eq_u64 s[4:5], 0
	s_wait_loadcnt 0x0
	v_readfirstlane_b32 s20, v1
	s_cbranch_scc1 .LBB2_20
; %bb.1:
	s_load_b32 s2, s[4:5], 0x0
	s_wait_kmcnt 0x0
	v_mov_b32_e32 v36, s2
	s_cbranch_execnz .LBB2_3
.LBB2_2:
	v_cvt_f32_f64_e32 v36, s[6:7]
.LBB2_3:
	s_load_b128 s[12:15], s[0:1], 0xd48
	s_wait_kmcnt 0x0
	s_cmp_eq_u64 s[14:15], 0
	s_cselect_b32 s2, -1, 0
	s_wait_alu 0xfffe
	s_and_b32 vcc_lo, exec_lo, s2
	s_cbranch_vccnz .LBB2_5
; %bb.4:
	s_load_b32 s2, s[14:15], 0x0
	s_wait_kmcnt 0x0
	s_cmp_neq_f32 s2, 1.0
	s_cselect_b32 s2, -1, 0
.LBB2_5:
	s_wait_alu 0xfffe
	s_and_not1_b32 vcc_lo, exec_lo, s2
	s_cbranch_vccnz .LBB2_84
; %bb.6:
	v_cvt_f32_f64_e32 v34, s[10:11]
	s_and_b32 s4, s20, 0xff
	v_cvt_f32_f64_e32 v35, s[8:9]
	s_lshl_b32 s10, s4, 3
	s_clause 0x2
	s_load_b64 s[6:7], s[0:1], s10 offset:0x5a0
	s_load_b32 s11, s[0:1], 0xd40
	s_load_b64 s[4:5], s[0:1], s10 offset:0x480
	s_mov_b32 s2, ttmp9
	v_cvt_f32_f64_e32 v37, s[16:17]
	v_cvt_f32_f64_e32 v38, s[18:19]
	s_wait_kmcnt 0x0
	s_load_b32 s14, s[6:7], 0x0
	s_delay_alu instid0(VALU_DEP_4)
	v_readfirstlane_b32 s6, v34
	s_cmp_neq_f32 s6, 1.0
	s_wait_kmcnt 0x0
	s_cselect_b32 s7, s14, 1.0
	s_wait_alu 0xfffe
	s_cmp_neq_f32 s7, 0
	s_cselect_b32 s6, s6, 1.0
	s_wait_alu 0xfffe
	v_frexp_mant_f32_e64 v1, |s6|
	s_delay_alu instid0(VALU_DEP_1) | instskip(SKIP_3) | instid1(SALU_CYCLE_1)
	v_readfirstlane_b32 s15, v1
	v_cvt_f64_f32_e64 v[1:2], |s6|
	s_cmp_lt_f32 s15, 0x3f2aaaab
	s_cselect_b32 s20, -1, 0
	s_and_b32 s21, s20, exec_lo
	s_cselect_b32 s21, 2.0, 1.0
	s_delay_alu instid0(SALU_CYCLE_1) | instskip(NEXT) | instid1(SALU_CYCLE_3)
	s_mul_f32 s15, s15, s21
	s_add_f32 s21, s15, 1.0
	s_add_f32 s23, s15, -1.0
	s_delay_alu instid0(SALU_CYCLE_2) | instskip(SKIP_1) | instid1(SALU_CYCLE_3)
	v_s_rcp_f32 s22, s21
	s_add_f32 s26, s21, -1.0
	s_sub_f32 s15, s15, s26
	s_delay_alu instid0(TRANS32_DEP_1) | instskip(NEXT) | instid1(SALU_CYCLE_3)
	s_mul_f32 s24, s23, s22
	s_mul_f32 s25, s21, s24
	s_delay_alu instid0(SALU_CYCLE_3) | instskip(NEXT) | instid1(VALU_DEP_1)
	s_xor_b32 s27, s25, 0x80000000
	v_frexp_exp_i32_f64_e32 v1, v[1:2]
	s_fmac_f32 s27, s24, s21
	s_delay_alu instid0(SALU_CYCLE_3) | instskip(NEXT) | instid1(SALU_CYCLE_3)
	s_fmac_f32 s27, s24, s15
	s_add_f32 s15, s25, s27
	s_delay_alu instid0(SALU_CYCLE_3) | instskip(SKIP_2) | instid1(SALU_CYCLE_1)
	s_sub_f32 s21, s23, s15
	s_sub_f32 s25, s15, s25
	s_wait_alu 0xfffe
	s_sub_f32 s23, s23, s21
	s_delay_alu instid0(SALU_CYCLE_1) | instskip(NEXT) | instid1(SALU_CYCLE_2)
	s_sub_f32 s25, s25, s27
	s_sub_f32 s15, s23, s15
	s_delay_alu instid0(SALU_CYCLE_3) | instskip(NEXT) | instid1(SALU_CYCLE_3)
	s_add_f32 s15, s25, s15
	s_add_f32 s15, s21, s15
	s_delay_alu instid0(SALU_CYCLE_3) | instskip(NEXT) | instid1(SALU_CYCLE_3)
	s_mul_f32 s15, s22, s15
	s_add_f32 s21, s24, s15
	s_wait_alu 0xfffe
	s_delay_alu instid0(SALU_CYCLE_2) | instskip(SKIP_1) | instid1(SALU_CYCLE_2)
	s_sub_f32 s22, s21, s24
	s_mul_f32 s23, s21, s21
	s_sub_f32 s22, s15, s22
	s_delay_alu instid0(SALU_CYCLE_2) | instskip(NEXT) | instid1(SALU_CYCLE_1)
	s_xor_b32 s24, s23, 0x80000000
	s_fmac_f32 s24, s21, s21
	s_delay_alu instid0(SALU_CYCLE_1) | instskip(NEXT) | instid1(SALU_CYCLE_3)
	s_add_f32 s15, s22, s22
	s_fmac_f32 s24, s21, s15
	s_mov_b32 s15, 0x3e76c4e1
	s_delay_alu instid0(SALU_CYCLE_2) | instskip(NEXT) | instid1(SALU_CYCLE_3)
	s_add_f32 s25, s23, s24
	s_fmaak_f32 s26, s25, s15, 0x3e91f4c4
	s_sub_f32 s23, s25, s23
	s_delay_alu instid0(SALU_CYCLE_2) | instskip(NEXT) | instid1(SALU_CYCLE_2)
	s_fmaak_f32 s26, s25, s26, 0x3ecccdef
	s_sub_f32 s23, s24, s23
	s_mul_f32 s24, s21, s25
	s_delay_alu instid0(SALU_CYCLE_1) | instskip(NEXT) | instid1(SALU_CYCLE_2)
	s_mul_f32 s27, s25, s26
	s_xor_b32 s29, s24, 0x80000000
	s_delay_alu instid0(SALU_CYCLE_2) | instskip(SKIP_2) | instid1(SALU_CYCLE_2)
	s_xor_b32 s28, s27, 0x80000000
	s_fmac_f32 s29, s25, s21
	s_fmac_f32 s28, s25, s26
	;; [unrolled: 1-line block ×3, first 2 shown]
	s_delay_alu instid0(SALU_CYCLE_2) | instskip(NEXT) | instid1(SALU_CYCLE_2)
	s_fmac_f32 s28, s23, s26
	s_fmac_f32 s29, s23, s21
	s_delay_alu instid0(SALU_CYCLE_2) | instskip(NEXT) | instid1(SALU_CYCLE_3)
	s_add_f32 s26, s27, s28
	s_sub_f32 s27, s26, s27
	s_add_f32 s30, s26, 0x3f2aaaaa
	s_delay_alu instid0(SALU_CYCLE_2) | instskip(NEXT) | instid1(SALU_CYCLE_2)
	s_sub_f32 s27, s28, s27
	s_add_f32 s28, s30, 0xbf2aaaaa
	s_delay_alu instid0(SALU_CYCLE_2) | instskip(NEXT) | instid1(SALU_CYCLE_2)
	s_add_f32 s25, s27, 0x31739010
	s_sub_f32 s26, s26, s28
	s_delay_alu instid0(SALU_CYCLE_3) | instskip(SKIP_1) | instid1(SALU_CYCLE_2)
	s_add_f32 s23, s25, s26
	s_add_f32 s25, s24, s29
	;; [unrolled: 1-line block ×3, first 2 shown]
	s_delay_alu instid0(SALU_CYCLE_2) | instskip(NEXT) | instid1(SALU_CYCLE_2)
	s_sub_f32 s24, s25, s24
	s_mul_f32 s27, s25, s26
	s_sub_f32 s28, s30, s26
	s_delay_alu instid0(SALU_CYCLE_1) | instskip(NEXT) | instid1(SALU_CYCLE_1)
	s_sub_f32 s24, s29, s24
	s_xor_b32 s30, s27, 0x80000000
	s_delay_alu instid0(SALU_CYCLE_1)
	s_add_f32 s23, s23, s28
	s_fmac_f32 s30, s25, s26
	v_readfirstlane_b32 s28, v1
	v_ldexp_f32 v1, s21, 1
	s_cmp_lg_u32 s20, 0
	s_fmac_f32 s30, s25, s23
	s_sub_co_ci_u32 s20, s28, 0
	s_delay_alu instid0(VALU_DEP_1) | instskip(NEXT) | instid1(SALU_CYCLE_1)
	v_readfirstlane_b32 s21, v1
	s_fmac_f32 s30, s24, s26
	s_wait_alu 0xfffe
	s_cvt_f32_i32 s20, s20
	v_ldexp_f32 v1, s22, 1
	s_add_f32 s23, s27, s30
	s_wait_alu 0xfffe
	s_mul_f32 s22, s20, 0x3f317218
	s_delay_alu instid0(VALU_DEP_1)
	v_readfirstlane_b32 s26, v1
	s_add_f32 s24, s21, s23
	s_sub_f32 s25, s23, s27
	s_wait_alu 0xfffe
	s_xor_b32 s27, s22, 0x80000000
	s_sub_f32 s21, s24, s21
	s_sub_f32 s25, s30, s25
	s_fmamk_f32 s27, s20, 0x3f317218, s27
	s_wait_alu 0xfffe
	s_sub_f32 s21, s23, s21
	s_add_f32 s23, s26, s25
	s_fmamk_f32 s20, s20, 0xb102e308, s27
	s_wait_alu 0xfffe
	s_delay_alu instid0(SALU_CYCLE_1) | instskip(NEXT) | instid1(SALU_CYCLE_1)
	s_add_f32 s21, s23, s21
	s_add_f32 s23, s22, s20
	s_wait_alu 0xfffe
	s_delay_alu instid0(SALU_CYCLE_1) | instskip(NEXT) | instid1(SALU_CYCLE_1)
	s_add_f32 s25, s24, s21
	s_sub_f32 s22, s23, s22
	s_delay_alu instid0(SALU_CYCLE_2)
	s_add_f32 s26, s23, s25
	s_sub_f32 s24, s25, s24
	s_wait_alu 0xfffe
	s_sub_f32 s20, s20, s22
	s_sub_f32 s27, s26, s23
	;; [unrolled: 1-line block ×3, first 2 shown]
	s_delay_alu instid0(SALU_CYCLE_2)
	s_sub_f32 s28, s26, s27
	s_sub_f32 s22, s25, s27
	s_wait_alu 0xfffe
	s_add_f32 s24, s20, s21
	s_sub_f32 s23, s23, s28
	s_wait_alu 0xfffe
	s_delay_alu instid0(SALU_CYCLE_2) | instskip(SKIP_2) | instid1(SALU_CYCLE_1)
	s_add_f32 s22, s22, s23
	s_sub_f32 s23, s24, s20
	s_wait_alu 0xfffe
	s_add_f32 s22, s24, s22
	s_delay_alu instid0(SALU_CYCLE_1) | instskip(SKIP_4) | instid1(SALU_CYCLE_2)
	s_sub_f32 s24, s24, s23
	s_sub_f32 s21, s21, s23
	s_wait_alu 0xfffe
	s_add_f32 s25, s26, s22
	s_sub_f32 s20, s20, s24
	s_sub_f32 s23, s25, s26
	s_wait_alu 0xfffe
	s_delay_alu instid0(SALU_CYCLE_1) | instskip(NEXT) | instid1(SALU_CYCLE_1)
	s_add_f32 s20, s21, s20
	s_sub_f32 s21, s22, s23
	s_wait_alu 0xfffe
	s_delay_alu instid0(SALU_CYCLE_2) | instskip(SKIP_1) | instid1(SALU_CYCLE_2)
	s_add_f32 s20, s20, s21
	s_wait_alu 0xfffe
	s_add_f32 s21, s25, s20
	s_wait_alu 0xfffe
	s_delay_alu instid0(SALU_CYCLE_2) | instskip(SKIP_2) | instid1(SALU_CYCLE_1)
	s_mul_f32 s22, s7, s21
	s_sub_f32 s23, s21, s25
	s_wait_alu 0xfffe
	s_xor_b32 s24, s22, 0x80000000
	s_delay_alu instid0(SALU_CYCLE_1) | instskip(SKIP_2) | instid1(SALU_CYCLE_2)
	s_sub_f32 s20, s20, s23
	s_fmac_f32 s24, s7, s21
	s_wait_alu 0xfffe
	s_fmac_f32 s24, s7, s20
	v_cmp_class_f32_e64 s20, s22, 0x204
	s_delay_alu instid0(SALU_CYCLE_2) | instskip(SKIP_2) | instid1(SALU_CYCLE_1)
	s_add_f32 s21, s22, s24
	s_and_b32 s20, s20, exec_lo
	s_wait_alu 0xfffe
	s_sub_f32 s20, s21, s22
	s_cselect_b32 s21, s22, s21
	s_wait_alu 0xfffe
	s_and_b32 s22, s21, 0x7fffffff
	s_sub_f32 s20, s24, s20
	s_wait_alu 0xfffe
	s_cmp_neq_f32 s22, 0x7f800000
	s_delay_alu instid0(SALU_CYCLE_1)
	s_cselect_b32 s20, s20, 0
	s_cmp_eq_f32 s21, 0x42b17218
	s_cselect_b32 s22, 0x37000000, 0
	s_wait_alu 0xfffe
	s_sub_f32 s21, s21, s22
	s_add_f32 s20, s22, s20
	s_wait_alu 0xfffe
	s_delay_alu instid0(SALU_CYCLE_1) | instskip(SKIP_1) | instid1(SALU_CYCLE_2)
	s_mul_f32 s23, s21, 0x3fb8aa3b
	s_wait_alu 0xfffe
	s_xor_b32 s24, s23, 0x80000000
	s_rndne_f32 s25, s23
	s_fmamk_f32 s24, s21, 0x3fb8aa3b, s24
	s_cmp_nlt_f32 s21, 0xc2ce8ed0
	s_delay_alu instid0(SALU_CYCLE_1) | instskip(NEXT) | instid1(SALU_CYCLE_1)
	s_sub_f32 s23, s23, s25
	s_fmamk_f32 s24, s21, 0x32a5705f, s24
	s_cselect_b32 vcc_lo, -1, 0
	s_cmp_ngt_f32 s21, 0x42b17218
	s_trunc_f32 s21, s7
	s_wait_alu 0xfffe
	s_add_f32 s23, s23, s24
	s_cvt_i32_f32 s24, s25
	s_wait_alu 0xfffe
	s_delay_alu instid0(SALU_CYCLE_1) | instskip(SKIP_1) | instid1(TRANS32_DEP_1)
	v_s_exp_f32 s23, s23
	s_wait_alu 0xf1ff
	v_ldexp_f32 v1, s23, s24
	s_mul_f32 s23, s7, 0.5
	s_delay_alu instid0(VALU_DEP_1)
	v_cndmask_b32_e32 v1, 0, v1, vcc_lo
	s_cselect_b32 vcc_lo, -1, 0
	s_cmp_eq_f32 s21, s7
	s_wait_alu 0xfffe
	s_trunc_f32 s24, s23
	v_cndmask_b32_e32 v1, 0x7f800000, v1, vcc_lo
	s_cselect_b32 s22, -1, 0
	s_wait_alu 0xfffe
	s_cmp_neq_f32 s24, s23
	s_delay_alu instid0(VALU_DEP_1)
	v_fma_f32 v2, s20, v1, v1
	v_cmp_class_f32_e64 vcc_lo, v1, 0x204
	s_cselect_b32 s20, -1, 0
	s_wait_alu 0xfffe
	s_and_b32 s20, s22, s20
	s_wait_alu 0xfffd
	v_cndmask_b32_e32 v1, v2, v1, vcc_lo
	s_wait_alu 0xfffe
	s_and_b32 s22, s20, exec_lo
	s_cselect_b32 s22, s6, 1.0
	s_cmp_eq_f32 s21, s7
	s_wait_alu 0xfffe
	v_bfi_b32 v1, 0x7fffffff, v1, s22
	s_cselect_b32 s22, -1, 0
	s_wait_alu 0xfffe
	s_and_b32 s22, s22, exec_lo
	s_delay_alu instid0(VALU_DEP_1)
	v_readfirstlane_b32 s21, v1
	s_cselect_b32 s22, s21, 0x7fc00000
	s_and_b32 s23, s6, 0x7fffffff
	s_cmp_lt_f32 s6, 0
	s_wait_alu 0xfffe
	s_cselect_b32 s21, s22, s21
	s_and_b32 s22, s7, 0x7fffffff
	s_wait_alu 0xfffe
	s_cmp_neq_f32 s7, s22
	s_cselect_b32 s22, -1, 0
	s_cmp_lt_f32 s23, 1.0
	s_cselect_b32 s24, -1, 0
	s_wait_alu 0xfffe
	s_xor_b32 s22, s22, s24
	v_cmp_class_f32_e64 s24, s7, 0x204
	s_wait_alu 0xfffe
	s_and_b32 s22, s22, exec_lo
	s_cselect_b32 s22, 0, 0x7f800000
	s_cmp_neq_f32 s23, 1.0
	s_wait_alu 0xfffe
	s_cselect_b32 s22, s22, 1.0
	s_and_b32 s23, s24, exec_lo
	s_wait_alu 0xfffe
	s_cselect_b32 s21, s22, s21
	s_cmp_eq_f32 s6, 0
	v_cmp_class_f32_e64 s22, s6, 0x204
	s_cselect_b32 s23, -1, 0
	s_wait_alu 0xfffe
	s_or_b32 s22, s23, s22
	s_cmp_lt_f32 s7, 0
	s_cselect_b32 s24, -1, 0
	s_wait_alu 0xfffe
	s_xor_b32 s23, s24, s23
	s_wait_alu 0xfffe
	s_and_b32 s23, s23, exec_lo
	s_cselect_b32 s23, 0, 0x7f800000
	s_and_b32 s20, s20, exec_lo
	s_cselect_b32 s20, s6, 0
	s_and_b32 s22, s22, exec_lo
	s_wait_alu 0xfffe
	v_mov_b32_e32 v1, s20
	s_delay_alu instid0(VALU_DEP_1) | instskip(NEXT) | instid1(VALU_DEP_1)
	v_bfi_b32 v1, 0x7fffffff, s23, v1
	v_readfirstlane_b32 s20, v1
	s_cselect_b32 s20, s20, s21
	s_cmp_o_f32 s6, s7
	s_wait_alu 0xfffe
	s_sub_f32 s6, 1.0, s20
	s_wait_alu 0xfffe
	s_delay_alu instid0(SALU_CYCLE_2) | instskip(SKIP_4) | instid1(SALU_CYCLE_1)
	s_cselect_b32 s7, s6, 0x7fc00000
	s_wait_alu 0xfffe
	s_mul_f32 s6, s7, 0x4f800000
	s_cmp_lt_f32 s7, 0xf800000
	s_wait_alu 0xfffe
	s_cselect_b32 s6, s6, s7
	s_wait_alu 0xfffe
	v_s_sqrt_f32 s8, s6
	s_mov_b32 s20, s6
	s_delay_alu instid0(TRANS32_DEP_1)
	s_add_co_i32 s9, s8, -1
	s_wait_alu 0xfffe
	s_xor_b32 s21, s9, 0x80000000
	s_wait_alu 0xfffe
	s_fmac_f32 s20, s21, s8
	s_mov_b32 s21, s6
	s_wait_alu 0xfffe
	s_delay_alu instid0(SALU_CYCLE_1)
	s_cmp_le_f32 s20, 0
	s_cselect_b32 s9, s9, s8
	s_add_co_i32 s20, s8, 1
	s_wait_alu 0xfffe
	s_xor_b32 s22, s20, 0x80000000
	s_wait_alu 0xfffe
	s_fmac_f32 s21, s22, s8
	s_wait_alu 0xfffe
	s_delay_alu instid0(SALU_CYCLE_2)
	s_cmp_gt_f32 s21, 0
	v_readfirstlane_b32 s21, v35
	s_cselect_b32 s8, s20, s9
	s_cmp_lt_f32 s7, 0xf800000
	s_wait_alu 0xfffe
	s_mul_f32 s7, s8, 0x37800000
	s_wait_alu 0xfffe
	s_delay_alu instid0(SALU_CYCLE_2)
	s_cselect_b32 s7, s7, s8
	s_cmp_neq_f32 s21, 1.0
	s_cselect_b32 s8, s14, 1.0
	s_wait_alu 0xfffe
	s_cmp_neq_f32 s8, 0
	s_cselect_b32 s9, s21, 1.0
	s_wait_alu 0xfffe
	v_frexp_mant_f32_e64 v1, |s9|
	s_delay_alu instid0(VALU_DEP_1)
	v_readfirstlane_b32 s14, v1
	v_cvt_f64_f32_e64 v[1:2], |s9|
	s_cmp_lt_f32 s14, 0x3f2aaaab
	s_cselect_b32 s20, -1, 0
	s_wait_alu 0xfffe
	s_and_b32 s21, s20, exec_lo
	s_cselect_b32 s21, 2.0, 1.0
	s_wait_alu 0xfffe
	s_mul_f32 s14, s14, s21
	s_delay_alu instid0(SALU_CYCLE_3) | instskip(SKIP_2) | instid1(SALU_CYCLE_1)
	s_add_f32 s21, s14, 1.0
	s_add_f32 s23, s14, -1.0
	s_wait_alu 0xfffe
	v_s_rcp_f32 s22, s21
	s_add_f32 s26, s21, -1.0
	s_delay_alu instid0(SALU_CYCLE_3) | instskip(NEXT) | instid1(TRANS32_DEP_1)
	s_sub_f32 s14, s14, s26
	s_mul_f32 s24, s23, s22
	s_wait_alu 0xfffe
	s_delay_alu instid0(SALU_CYCLE_2) | instskip(SKIP_1) | instid1(SALU_CYCLE_2)
	s_mul_f32 s25, s21, s24
	s_wait_alu 0xfffe
	s_xor_b32 s27, s25, 0x80000000
	s_delay_alu instid0(SALU_CYCLE_1) | instskip(NEXT) | instid1(VALU_DEP_1)
	s_fmac_f32 s27, s24, s21
	v_frexp_exp_i32_f64_e32 v1, v[1:2]
	s_delay_alu instid0(SALU_CYCLE_2) | instskip(NEXT) | instid1(SALU_CYCLE_3)
	s_fmac_f32 s27, s24, s14
	s_add_f32 s14, s25, s27
	s_delay_alu instid0(SALU_CYCLE_3) | instskip(SKIP_2) | instid1(SALU_CYCLE_1)
	s_sub_f32 s21, s23, s14
	s_sub_f32 s25, s14, s25
	s_wait_alu 0xfffe
	s_sub_f32 s23, s23, s21
	s_delay_alu instid0(SALU_CYCLE_1) | instskip(SKIP_1) | instid1(SALU_CYCLE_1)
	s_sub_f32 s25, s25, s27
	s_wait_alu 0xfffe
	s_sub_f32 s14, s23, s14
	s_delay_alu instid0(SALU_CYCLE_3) | instskip(NEXT) | instid1(SALU_CYCLE_3)
	s_add_f32 s14, s25, s14
	s_add_f32 s14, s21, s14
	s_delay_alu instid0(SALU_CYCLE_3) | instskip(NEXT) | instid1(SALU_CYCLE_3)
	s_mul_f32 s14, s22, s14
	s_add_f32 s21, s24, s14
	s_wait_alu 0xfffe
	s_delay_alu instid0(SALU_CYCLE_2) | instskip(SKIP_2) | instid1(SALU_CYCLE_1)
	s_sub_f32 s22, s21, s24
	s_mul_f32 s23, s21, s21
	s_wait_alu 0xfffe
	s_sub_f32 s14, s14, s22
	s_delay_alu instid0(SALU_CYCLE_1) | instskip(SKIP_4) | instid1(SALU_CYCLE_2)
	s_xor_b32 s22, s23, 0x80000000
	s_wait_alu 0xfffe
	s_fmac_f32 s22, s21, s21
	s_add_f32 s24, s14, s14
	s_wait_alu 0xfffe
	s_fmac_f32 s22, s21, s24
	s_wait_alu 0xfffe
	s_delay_alu instid0(SALU_CYCLE_2) | instskip(SKIP_1) | instid1(SALU_CYCLE_2)
	s_add_f32 s24, s23, s22
	s_wait_alu 0xfffe
	s_fmaak_f32 s15, s24, s15, 0x3e91f4c4
	s_sub_f32 s23, s24, s23
	s_delay_alu instid0(SALU_CYCLE_2) | instskip(SKIP_1) | instid1(SALU_CYCLE_1)
	s_fmaak_f32 s15, s24, s15, 0x3ecccdef
	s_wait_alu 0xfffe
	s_sub_f32 s22, s22, s23
	s_delay_alu instid0(SALU_CYCLE_1) | instskip(SKIP_1) | instid1(SALU_CYCLE_2)
	s_mul_f32 s25, s24, s15
	s_wait_alu 0xfffe
	s_xor_b32 s26, s25, 0x80000000
	s_delay_alu instid0(SALU_CYCLE_1) | instskip(NEXT) | instid1(SALU_CYCLE_3)
	s_fmac_f32 s26, s24, s15
	s_fmac_f32 s26, s22, s15
	s_mul_f32 s15, s21, s24
	s_delay_alu instid0(SALU_CYCLE_2) | instskip(NEXT) | instid1(SALU_CYCLE_2)
	s_add_f32 s23, s25, s26
	s_xor_b32 s27, s15, 0x80000000
	s_delay_alu instid0(SALU_CYCLE_1)
	s_fmac_f32 s27, s24, s21
	s_wait_alu 0xfffe
	s_sub_f32 s25, s23, s25
	s_add_f32 s28, s23, 0x3f2aaaaa
	s_fmac_f32 s27, s24, s14
	s_wait_alu 0xfffe
	s_sub_f32 s25, s26, s25
	s_add_f32 s26, s28, 0xbf2aaaaa
	s_fmac_f32 s27, s22, s21
	s_wait_alu 0xfffe
	s_add_f32 s24, s25, 0x31739010
	s_sub_f32 s23, s23, s26
	s_wait_alu 0xfffe
	s_delay_alu instid0(SALU_CYCLE_2) | instskip(SKIP_2) | instid1(SALU_CYCLE_1)
	s_add_f32 s22, s24, s23
	s_add_f32 s23, s15, s27
	s_wait_alu 0xfffe
	s_add_f32 s24, s28, s22
	s_delay_alu instid0(SALU_CYCLE_1) | instskip(SKIP_1) | instid1(SALU_CYCLE_1)
	s_sub_f32 s15, s23, s15
	s_wait_alu 0xfffe
	s_mul_f32 s25, s23, s24
	s_sub_f32 s26, s28, s24
	s_sub_f32 s15, s27, s15
	s_wait_alu 0xfffe
	s_xor_b32 s28, s25, 0x80000000
	s_add_f32 s22, s22, s26
	s_fmac_f32 s28, s23, s24
	v_readfirstlane_b32 s26, v1
	v_ldexp_f32 v1, s21, 1
	s_cmp_lg_u32 s20, 0
	s_wait_alu 0xfffe
	s_fmac_f32 s28, s23, s22
	s_delay_alu instid0(VALU_DEP_1) | instskip(NEXT) | instid1(SALU_CYCLE_2)
	v_readfirstlane_b32 s20, v1
	s_fmac_f32 s28, s15, s24
	s_sub_co_ci_u32 s15, s26, 0
	v_ldexp_f32 v1, s14, 1
	s_cvt_f32_i32 s15, s15
	s_add_f32 s21, s25, s28
	s_wait_alu 0xfffe
	s_delay_alu instid0(SALU_CYCLE_1) | instskip(NEXT) | instid1(SALU_CYCLE_1)
	s_mul_f32 s14, s15, 0x3f317218
	s_add_f32 s22, s20, s21
	s_sub_f32 s23, s21, s25
	v_readfirstlane_b32 s24, v1
	s_wait_alu 0xfffe
	s_xor_b32 s25, s14, 0x80000000
	s_sub_f32 s20, s22, s20
	s_sub_f32 s23, s28, s23
	s_wait_alu 0xfffe
	s_fmamk_f32 s25, s15, 0x3f317218, s25
	s_sub_f32 s20, s21, s20
	s_add_f32 s21, s24, s23
	s_wait_alu 0xfffe
	s_fmamk_f32 s15, s15, 0xb102e308, s25
	s_delay_alu instid0(SALU_CYCLE_1) | instskip(SKIP_1) | instid1(SALU_CYCLE_1)
	s_add_f32 s20, s21, s20
	s_wait_alu 0xfffe
	s_add_f32 s21, s14, s15
	s_delay_alu instid0(SALU_CYCLE_1) | instskip(SKIP_1) | instid1(SALU_CYCLE_1)
	s_add_f32 s23, s22, s20
	s_wait_alu 0xfffe
	s_sub_f32 s14, s21, s14
	s_delay_alu instid0(SALU_CYCLE_1)
	s_add_f32 s24, s21, s23
	s_sub_f32 s22, s23, s22
	s_wait_alu 0xfffe
	s_sub_f32 s14, s15, s14
	s_sub_f32 s25, s24, s21
	;; [unrolled: 1-line block ×3, first 2 shown]
	s_wait_alu 0xfffe
	s_delay_alu instid0(SALU_CYCLE_1)
	s_sub_f32 s26, s24, s25
	s_sub_f32 s20, s23, s25
	s_add_f32 s22, s14, s15
	s_mov_b32 s25, 0
	s_sub_f32 s21, s21, s26
	s_wait_alu 0xfffe
	s_mov_b32 s17, s25
	s_delay_alu instid0(SALU_CYCLE_1) | instskip(SKIP_2) | instid1(SALU_CYCLE_1)
	s_add_f32 s20, s20, s21
	s_sub_f32 s21, s22, s14
	s_wait_alu 0xfffe
	s_add_f32 s20, s22, s20
	s_delay_alu instid0(SALU_CYCLE_1)
	s_sub_f32 s22, s22, s21
	s_sub_f32 s15, s15, s21
	s_wait_alu 0xfffe
	s_add_f32 s23, s24, s20
	s_sub_f32 s14, s14, s22
	s_wait_alu 0xfffe
	s_delay_alu instid0(SALU_CYCLE_1) | instskip(NEXT) | instid1(SALU_CYCLE_1)
	s_sub_f32 s21, s23, s24
	s_add_f32 s14, s15, s14
	s_wait_alu 0xfffe
	s_delay_alu instid0(SALU_CYCLE_1) | instskip(SKIP_1) | instid1(SALU_CYCLE_2)
	s_sub_f32 s15, s20, s21
	s_wait_alu 0xfffe
	s_add_f32 s14, s14, s15
	s_wait_alu 0xfffe
	s_delay_alu instid0(SALU_CYCLE_2) | instskip(SKIP_1) | instid1(SALU_CYCLE_2)
	s_add_f32 s15, s23, s14
	s_wait_alu 0xfffe
	s_mul_f32 s20, s8, s15
	s_sub_f32 s21, s15, s23
	s_wait_alu 0xfffe
	s_delay_alu instid0(SALU_CYCLE_1) | instskip(NEXT) | instid1(SALU_CYCLE_1)
	s_xor_b32 s22, s20, 0x80000000
	s_sub_f32 s14, s14, s21
	s_wait_alu 0xfffe
	s_fmac_f32 s22, s8, s15
	s_wait_alu 0xfffe
	s_delay_alu instid0(SALU_CYCLE_2) | instskip(SKIP_2) | instid1(SALU_CYCLE_1)
	s_fmac_f32 s22, s8, s14
	v_cmp_class_f32_e64 s14, s20, 0x204
	s_wait_alu 0xfffe
	s_add_f32 s15, s20, s22
	s_and_b32 s14, s14, exec_lo
	s_wait_alu 0xfffe
	s_delay_alu instid0(SALU_CYCLE_1)
	s_sub_f32 s14, s15, s20
	s_cselect_b32 s15, s20, s15
	s_wait_alu 0xfffe
	s_and_b32 s20, s15, 0x7fffffff
	s_sub_f32 s14, s22, s14
	s_wait_alu 0xfffe
	s_cmp_neq_f32 s20, 0x7f800000
	s_delay_alu instid0(SALU_CYCLE_1)
	s_cselect_b32 s14, s14, 0
	s_cmp_eq_f32 s15, 0x42b17218
	s_cselect_b32 s20, 0x37000000, 0
	s_wait_alu 0xfffe
	s_sub_f32 s15, s15, s20
	s_add_f32 s14, s20, s14
	s_wait_alu 0xfffe
	s_delay_alu instid0(SALU_CYCLE_1) | instskip(SKIP_1) | instid1(SALU_CYCLE_2)
	s_mul_f32 s21, s15, 0x3fb8aa3b
	s_wait_alu 0xfffe
	s_xor_b32 s22, s21, 0x80000000
	s_rndne_f32 s23, s21
	s_wait_alu 0xfffe
	s_fmamk_f32 s22, s15, 0x3fb8aa3b, s22
	s_cmp_nlt_f32 s15, 0xc2ce8ed0
	s_sub_f32 s21, s21, s23
	s_wait_alu 0xfffe
	s_fmamk_f32 s22, s15, 0x32a5705f, s22
	s_cselect_b32 vcc_lo, -1, 0
	s_cmp_ngt_f32 s15, 0x42b17218
	s_trunc_f32 s15, s8
	s_wait_alu 0xfffe
	s_add_f32 s21, s21, s22
	s_cvt_i32_f32 s22, s23
	s_wait_alu 0xfffe
	s_delay_alu instid0(SALU_CYCLE_1) | instskip(SKIP_1) | instid1(TRANS32_DEP_1)
	v_s_exp_f32 s21, s21
	s_wait_alu 0xf1ff
	v_ldexp_f32 v1, s21, s22
	s_mul_f32 s21, s8, 0.5
	s_delay_alu instid0(VALU_DEP_1)
	v_cndmask_b32_e32 v1, 0, v1, vcc_lo
	s_cselect_b32 vcc_lo, -1, 0
	s_cmp_eq_f32 s15, s8
	s_wait_alu 0xfffe
	s_trunc_f32 s22, s21
	v_cndmask_b32_e32 v1, 0x7f800000, v1, vcc_lo
	s_cselect_b32 s23, -1, 0
	s_wait_alu 0xfffe
	s_cmp_neq_f32 s22, s21
	s_delay_alu instid0(VALU_DEP_1)
	v_fma_f32 v2, s14, v1, v1
	s_cselect_b32 s20, -1, 0
	v_cmp_class_f32_e64 vcc_lo, v1, 0x204
	s_wait_alu 0xfffe
	s_and_b32 s20, s23, s20
	s_wait_alu 0xfffe
	s_and_b32 s14, s20, exec_lo
	s_cselect_b32 s14, s9, 1.0
	s_cmp_eq_f32 s15, s8
	s_wait_alu 0xfffd
	v_cndmask_b32_e32 v1, v2, v1, vcc_lo
	s_cselect_b32 vcc_lo, -1, 0
	s_bitcmp1_b32 s11, 0
	s_wait_alu 0xfffe
	s_delay_alu instid0(VALU_DEP_1) | instskip(SKIP_3) | instid1(VALU_DEP_1)
	v_bfi_b32 v1, 0x7fffffff, v1, s14
	s_cselect_b32 s30, -1, 0
	s_and_b32 s11, s9, 0x7fffffff
	s_cmp_lt_f32 s9, 0
	v_cndmask_b32_e32 v2, 0x7fc00000, v1, vcc_lo
	s_cselect_b32 vcc_lo, -1, 0
	s_and_b32 s14, s8, 0x7fffffff
	s_wait_alu 0xfffe
	s_cmp_neq_f32 s8, s14
	v_cndmask_b32_e32 v1, v1, v2, vcc_lo
	s_cselect_b32 s14, -1, 0
	s_cmp_lt_f32 s11, 1.0
	s_cselect_b32 s15, -1, 0
	s_wait_alu 0xfffe
	s_xor_b32 s14, s14, s15
	v_cmp_class_f32_e64 s15, s8, 0x204
	s_wait_alu 0xfffe
	s_and_b32 s14, s14, exec_lo
	s_cselect_b32 s14, 0, 0x7f800000
	s_cmp_neq_f32 s11, 1.0
	s_wait_alu 0xfffe
	s_cselect_b32 s11, s14, 1.0
	s_cmp_eq_f32 s9, 0
	v_cmp_class_f32_e64 s14, s9, 0x204
	s_wait_alu 0xfffe
	v_cndmask_b32_e64 v1, v1, s11, s15
	s_cselect_b32 s21, -1, 0
	s_wait_alu 0xfffe
	s_or_b32 vcc_lo, s21, s14
	s_cmp_lt_f32 s8, 0
	s_mul_u64 s[14:15], s[2:3], 3
	s_add_nc_u64 s[2:3], s[0:1], s[2:3]
	s_cselect_b32 s11, -1, 0
	s_wait_alu 0xfffe
	s_add_nc_u64 s[2:3], s[2:3], s[14:15]
	s_xor_b32 s11, s11, s21
	s_load_b32 s2, s[2:3], 0x800
	s_and_b32 s11, s11, exec_lo
	s_cselect_b32 s11, 0, 0x7f800000
	s_and_b32 s14, s20, exec_lo
	s_cselect_b32 s14, s9, 0
	v_cmp_class_f32_e64 s3, s6, 0x260
	s_wait_alu 0xfffe
	v_mov_b32_e32 v2, s14
	s_clause 0x3
	s_load_b64 s[14:15], s[0:1], s10 offset:0x0
	s_load_b64 s[20:21], s[0:1], s10 offset:0x120
	;; [unrolled: 1-line block ×4, first 2 shown]
	s_cmp_o_f32 s9, s8
	v_bfi_b32 v2, 0x7fffffff, s11, v2
	s_delay_alu instid0(VALU_DEP_1)
	v_cndmask_b32_e32 v1, v1, v2, vcc_lo
	s_cselect_b32 vcc_lo, -1, 0
	s_and_b32 s3, s3, exec_lo
	s_cselect_b32 s31, s6, s7
	s_wait_kmcnt 0x0
	s_ashr_i32 s3, s2, 31
	v_sub_f32_e32 v1, 1.0, v1
	s_wait_alu 0xfffe
	s_lshl_b64 s[18:19], s[2:3], 18
	s_lshl_b64 s[28:29], s[2:3], 16
	s_mov_b32 s3, s25
	s_wait_alu 0xfffe
	s_add_nc_u64 s[6:7], s[14:15], s[18:19]
	s_add_nc_u64 s[8:9], s[20:21], s[18:19]
	s_wait_alu 0xfffe
	s_and_b32 s24, s6, 15
	s_and_b32 s16, s8, 15
	s_add_nc_u64 s[10:11], s[22:23], s[18:19]
	s_wait_alu 0xfffe
	s_cmp_lg_u64 s[16:17], 0
	s_add_nc_u64 s[14:15], s[26:27], s[18:19]
	s_cselect_b32 s16, -1, 0
	s_wait_alu 0xfffe
	s_or_b32 s2, s14, s10
	v_cndmask_b32_e32 v39, 0x7fc00000, v1, vcc_lo
	s_wait_alu 0xfffe
	s_and_b32 s2, s2, 15
	s_sub_nc_u64 s[20:21], s[4:5], s[28:29]
	s_wait_alu 0xfffe
	s_cmp_lg_u32 s2, 0
	s_cselect_b32 s17, -1, 0
	s_and_b32 s2, s4, 3
	s_wait_alu 0xfffe
	s_or_b32 s16, s17, s16
	s_or_b64 s[2:3], s[24:25], s[2:3]
	s_wait_alu 0xfffe
	s_cmp_lg_u64 s[2:3], 0
	s_cselect_b32 s2, -1, 0
	s_wait_alu 0xfffe
	s_or_b32 s3, s16, s2
	s_mov_b32 s2, -1
	s_wait_alu 0xfffe
	s_and_not1_b32 vcc_lo, exec_lo, s3
	s_wait_alu 0xfffe
	s_cbranch_vccz .LBB2_22
; %bb.7:
	v_cmp_gt_i64_e64 s2, 0x10000, s[20:21]
	v_dual_mov_b32 v23, 0 :: v_dual_lshlrev_b32 v22, 2, v0
	s_mov_b32 s33, exec_lo
	s_and_b32 s2, s2, exec_lo
	s_cselect_b32 s17, s21, 0
	s_cselect_b32 s16, s20, 0x10000
	s_wait_alu 0xfffe
	v_cmpx_gt_i64_e64 s[16:17], v[22:23]
	s_cbranch_execz .LBB2_21
; %bb.8:
	v_div_scale_f32 v1, null, v39, v39, v36
	v_div_scale_f32 v4, vcc_lo, v36, v39, v36
	s_load_b32 s3, s[0:1], 0xd64
	v_rcp_f32_e32 v2, v1
	v_xor_b32_e32 v3, 0x80000000, v1
	s_cmp_lg_u64 s[12:13], 0
	v_cmp_neq_f32_e64 s2, 0, v37
	s_mov_b32 s19, 0
	s_cselect_b32 s34, -1, 0
	s_mov_b64 s[22:23], s[8:9]
	s_wait_alu 0xfffe
	s_mov_b32 s36, s19
	s_mov_b64 s[24:25], s[10:11]
	s_mov_b64 s[26:27], s[6:7]
	v_fma_f32 v1, v3, v2, 1.0
	s_mov_b64 s[28:29], s[14:15]
	v_lshlrev_b32_e32 v40, 4, v0
	s_delay_alu instid0(VALU_DEP_2) | instskip(SKIP_2) | instid1(VALU_DEP_1)
	v_fmac_f32_e32 v2, v1, v2
	s_wait_kmcnt 0x0
	s_and_b32 s35, s3, 0xffff
	v_mul_f32_e32 v5, v4, v2
	s_lshl_b32 s18, s35, 4
	s_delay_alu instid0(VALU_DEP_1) | instskip(NEXT) | instid1(VALU_DEP_1)
	v_fma_f32 v1, v3, v5, v4
	v_fmac_f32_e32 v5, v1, v2
	v_mov_b32_e32 v1, v23
	s_delay_alu instid0(VALU_DEP_1) | instskip(NEXT) | instid1(VALU_DEP_3)
	v_dual_mov_b32 v25, v1 :: v_dual_mov_b32 v24, v0
	v_fmac_f32_e32 v4, v3, v5
	s_delay_alu instid0(VALU_DEP_1) | instskip(NEXT) | instid1(VALU_DEP_1)
	v_div_fmas_f32 v2, v4, v2, v5
	v_div_fixup_f32 v41, v2, v39, v36
	s_branch .LBB2_10
.LBB2_9:                                ;   in Loop: Header=BB2_10 Depth=1
	v_add_co_u32 v24, vcc_lo, v24, s35
	s_wait_alu 0xfffd
	v_add_co_ci_u32_e64 v25, null, 0, v25, vcc_lo
	s_add_nc_u64 s[28:29], s[28:29], s[18:19]
	s_add_nc_u64 s[26:27], s[26:27], s[18:19]
	;; [unrolled: 1-line block ×3, first 2 shown]
	v_lshlrev_b64_e32 v[1:2], 2, v[24:25]
	s_add_nc_u64 s[22:23], s[22:23], s[18:19]
	global_store_b128 v[28:29], v[19:22], off
	global_store_b128 v[26:27], v[13:16], off
	v_cmp_le_i64_e32 vcc_lo, s[16:17], v[1:2]
	s_or_b32 s36, vcc_lo, s36
	s_delay_alu instid0(SALU_CYCLE_1)
	s_and_not1_b32 exec_lo, exec_lo, s36
	s_cbranch_execz .LBB2_21
.LBB2_10:                               ; =>This Inner Loop Header: Depth=1
	s_wait_alu 0xfffe
	v_add_co_u32 v32, s3, s26, v40
	s_wait_alu 0xf1ff
	v_add_co_ci_u32_e64 v33, null, s27, 0, s3
	v_add_co_u32 v30, s3, s22, v40
	s_wait_alu 0xf1ff
	v_add_co_ci_u32_e64 v31, null, s23, 0, s3
	;; [unrolled: 3-line block ×4, first 2 shown]
	global_load_b128 v[5:8], v[32:33], off
	global_load_b128 v[1:4], v[30:31], off
	;; [unrolled: 1-line block ×4, first 2 shown]
	s_and_not1_b32 vcc_lo, exec_lo, s34
	s_wait_alu 0xfffe
	s_cbranch_vccnz .LBB2_12
; %bb.11:                               ;   in Loop: Header=BB2_10 Depth=1
	global_load_b32 v13, v23, s[12:13]
	s_wait_loadcnt 0x0
	v_div_scale_f32 v14, null, v13, v13, v1
	s_delay_alu instid0(VALU_DEP_1) | instskip(NEXT) | instid1(TRANS32_DEP_1)
	v_rcp_f32_e32 v15, v14
	v_fma_f32 v20, -v14, v15, 1.0
	s_delay_alu instid0(VALU_DEP_1) | instskip(SKIP_1) | instid1(VALU_DEP_1)
	v_fmac_f32_e32 v15, v20, v15
	v_div_scale_f32 v20, vcc_lo, v1, v13, v1
	v_mul_f32_e32 v21, v20, v15
	s_delay_alu instid0(VALU_DEP_1) | instskip(NEXT) | instid1(VALU_DEP_1)
	v_fma_f32 v22, -v14, v21, v20
	v_fmac_f32_e32 v21, v22, v15
	s_delay_alu instid0(VALU_DEP_1) | instskip(SKIP_1) | instid1(VALU_DEP_1)
	v_fma_f32 v14, -v14, v21, v20
	s_wait_alu 0xfffd
	v_div_fmas_f32 v14, v14, v15, v21
	s_delay_alu instid0(VALU_DEP_1)
	v_div_fixup_f32 v1, v14, v13, v1
.LBB2_12:                               ;   in Loop: Header=BB2_10 Depth=1
	s_and_not1_b32 vcc_lo, exec_lo, s34
	s_wait_alu 0xfffe
	s_cbranch_vccnz .LBB2_14
; %bb.13:                               ;   in Loop: Header=BB2_10 Depth=1
	global_load_b32 v13, v23, s[12:13]
	s_wait_loadcnt 0x0
	v_div_scale_f32 v14, null, v13, v13, v2
	s_delay_alu instid0(VALU_DEP_1) | instskip(NEXT) | instid1(TRANS32_DEP_1)
	v_rcp_f32_e32 v15, v14
	v_fma_f32 v20, -v14, v15, 1.0
	s_delay_alu instid0(VALU_DEP_1) | instskip(SKIP_1) | instid1(VALU_DEP_1)
	v_fmac_f32_e32 v15, v20, v15
	v_div_scale_f32 v20, vcc_lo, v2, v13, v2
	v_mul_f32_e32 v21, v20, v15
	s_delay_alu instid0(VALU_DEP_1) | instskip(NEXT) | instid1(VALU_DEP_1)
	v_fma_f32 v22, -v14, v21, v20
	v_fmac_f32_e32 v21, v22, v15
	s_delay_alu instid0(VALU_DEP_1) | instskip(SKIP_1) | instid1(VALU_DEP_1)
	v_fma_f32 v14, -v14, v21, v20
	s_wait_alu 0xfffd
	v_div_fmas_f32 v14, v14, v15, v21
	s_delay_alu instid0(VALU_DEP_1)
	v_div_fixup_f32 v2, v14, v13, v2
.LBB2_14:                               ;   in Loop: Header=BB2_10 Depth=1
	;; [unrolled: 24-line block ×4, first 2 shown]
	s_wait_loadcnt 0x2
	v_cndmask_b32_e64 v13, v3, -v3, s30
	v_cndmask_b32_e64 v46, v1, -v1, s30
	s_delay_alu instid0(VALU_DEP_2) | instskip(NEXT) | instid1(VALU_DEP_2)
	v_fma_f32 v14, v7, v37, v13
	v_fma_f32 v50, v5, v37, v46
	s_delay_alu instid0(VALU_DEP_2) | instskip(NEXT) | instid1(VALU_DEP_2)
	v_cndmask_b32_e64 v13, v13, v14, s2
	v_cndmask_b32_e64 v46, v46, v50, s2
	s_delay_alu instid0(VALU_DEP_2) | instskip(NEXT) | instid1(VALU_DEP_1)
	v_mul_f32_e32 v14, v13, v13
	v_fma_f32 v15, -v34, v14, v14
	s_wait_loadcnt 0x0
	s_delay_alu instid0(VALU_DEP_1) | instskip(NEXT) | instid1(VALU_DEP_1)
	v_fmac_f32_e32 v15, v34, v18
	v_mul_f32_e32 v14, 0x4f800000, v15
	v_cmp_gt_f32_e32 vcc_lo, 0xf800000, v15
	s_wait_alu 0xfffd
	s_delay_alu instid0(VALU_DEP_2) | instskip(NEXT) | instid1(VALU_DEP_1)
	v_cndmask_b32_e32 v14, v15, v14, vcc_lo
	v_sqrt_f32_e32 v18, v14
	s_delay_alu instid0(TRANS32_DEP_1) | instskip(SKIP_1) | instid1(VALU_DEP_2)
	v_add_nc_u32_e32 v20, -1, v18
	v_add_nc_u32_e32 v21, 1, v18
	v_fma_f32 v22, -v20, v18, v14
	s_delay_alu instid0(VALU_DEP_2) | instskip(NEXT) | instid1(VALU_DEP_2)
	v_fma_f32 v42, -v21, v18, v14
	v_cmp_ge_f32_e64 s3, 0, v22
	s_wait_alu 0xf1ff
	s_delay_alu instid0(VALU_DEP_1) | instskip(SKIP_3) | instid1(VALU_DEP_1)
	v_cndmask_b32_e64 v18, v18, v20, s3
	v_cndmask_b32_e64 v20, v2, -v2, s30
	v_cmp_lt_f32_e64 s3, 0, v42
	s_wait_alu 0xf1ff
	v_cndmask_b32_e64 v18, v18, v21, s3
	s_delay_alu instid0(VALU_DEP_3) | instskip(NEXT) | instid1(VALU_DEP_2)
	v_fma_f32 v21, v6, v37, v20
	v_mul_f32_e32 v22, 0x37800000, v18
	s_delay_alu instid0(VALU_DEP_2) | instskip(NEXT) | instid1(VALU_DEP_1)
	v_cndmask_b32_e64 v20, v20, v21, s2
	v_dual_cndmask_b32 v18, v18, v22 :: v_dual_mul_f32 v21, v20, v20
	v_cmp_class_f32_e64 vcc_lo, v14, 0x260
	v_fma_f32 v20, -v35, v20, v20
	s_wait_alu 0xfffd
	s_delay_alu instid0(VALU_DEP_3) | instskip(SKIP_1) | instid1(VALU_DEP_3)
	v_cndmask_b32_e32 v18, v18, v14, vcc_lo
	v_fma_f32 v14, -v34, v21, v21
	v_fmac_f32_e32 v20, v35, v10
	s_delay_alu instid0(VALU_DEP_2) | instskip(NEXT) | instid1(VALU_DEP_1)
	v_fmac_f32_e32 v14, v34, v17
	v_mul_f32_e32 v21, 0x4f800000, v14
	v_cmp_gt_f32_e64 s3, 0xf800000, v14
	s_wait_alu 0xf1ff
	s_delay_alu instid0(VALU_DEP_1) | instskip(NEXT) | instid1(VALU_DEP_1)
	v_cndmask_b32_e64 v42, v14, v21, s3
	v_sqrt_f32_e32 v43, v42
	s_delay_alu instid0(TRANS32_DEP_1) | instskip(SKIP_2) | instid1(VALU_DEP_3)
	v_add_nc_u32_e32 v47, 1, v43
	v_div_scale_f32 v22, null, s31, s31, v18
	v_div_scale_f32 v44, vcc_lo, v18, s31, v18
	v_fma_f32 v51, -v47, v43, v42
	s_delay_alu instid0(VALU_DEP_3) | instskip(NEXT) | instid1(TRANS32_DEP_1)
	v_rcp_f32_e32 v17, v22
	v_fma_f32 v21, -v22, v17, 1.0
	s_delay_alu instid0(VALU_DEP_1) | instskip(SKIP_1) | instid1(VALU_DEP_2)
	v_fmac_f32_e32 v17, v21, v17
	v_add_nc_u32_e32 v21, -1, v43
	v_mul_f32_e32 v45, v44, v17
	s_delay_alu instid0(VALU_DEP_2) | instskip(NEXT) | instid1(VALU_DEP_2)
	v_fma_f32 v49, -v21, v43, v42
	v_fma_f32 v48, -v22, v45, v44
	s_delay_alu instid0(VALU_DEP_2) | instskip(NEXT) | instid1(VALU_DEP_2)
	v_cmp_ge_f32_e64 s4, 0, v49
	v_fmac_f32_e32 v45, v48, v17
	s_wait_alu 0xf1ff
	s_delay_alu instid0(VALU_DEP_2) | instskip(SKIP_3) | instid1(VALU_DEP_3)
	v_cndmask_b32_e64 v43, v43, v21, s4
	v_fma_f32 v21, -v35, v13, v13
	v_cmp_lt_f32_e64 s4, 0, v51
	v_fma_f32 v13, -v22, v45, v44
	v_fmac_f32_e32 v21, v35, v11
	s_wait_alu 0xf1ff
	s_delay_alu instid0(VALU_DEP_3)
	v_cndmask_b32_e64 v22, v43, v47, s4
	v_mul_f32_e32 v43, v46, v46
	s_wait_alu 0xfffd
	v_div_fmas_f32 v13, v13, v17, v45
	v_cndmask_b32_e64 v45, v4, -v4, s30
	v_cmp_class_f32_e64 vcc_lo, v42, 0x260
	v_mul_f32_e32 v17, 0x37800000, v22
	s_delay_alu instid0(VALU_DEP_4) | instskip(SKIP_4) | instid1(VALU_DEP_2)
	v_div_fixup_f32 v11, v13, s31, v18
	v_mul_f32_e32 v18, v41, v21
	v_fma_f32 v13, -v34, v43, v43
	v_fma_f32 v52, v8, v37, v45
	v_cndmask_b32_e64 v17, v22, v17, s3
	v_cndmask_b32_e64 v45, v45, v52, s2
	s_delay_alu instid0(VALU_DEP_4) | instskip(SKIP_1) | instid1(VALU_DEP_3)
	v_fmac_f32_e32 v13, v34, v16
	s_wait_alu 0xfffd
	v_cndmask_b32_e32 v17, v17, v42, vcc_lo
	s_delay_alu instid0(VALU_DEP_2) | instskip(SKIP_1) | instid1(VALU_DEP_3)
	v_mul_f32_e32 v43, 0x4f800000, v13
	v_cmp_gt_f32_e64 s3, 0xf800000, v13
	v_div_scale_f32 v22, null, s31, s31, v17
	s_wait_alu 0xf1ff
	s_delay_alu instid0(VALU_DEP_2) | instskip(NEXT) | instid1(VALU_DEP_2)
	v_cndmask_b32_e64 v43, v13, v43, s3
	v_rcp_f32_e32 v44, v22
	s_delay_alu instid0(VALU_DEP_1) | instskip(NEXT) | instid1(TRANS32_DEP_2)
	v_sqrt_f32_e32 v48, v43
	v_fma_f32 v49, -v22, v44, 1.0
	s_delay_alu instid0(TRANS32_DEP_1) | instskip(SKIP_1) | instid1(VALU_DEP_3)
	v_add_nc_u32_e32 v51, -1, v48
	v_add_nc_u32_e32 v54, 1, v48
	v_fmac_f32_e32 v44, v49, v44
	s_delay_alu instid0(VALU_DEP_3) | instskip(NEXT) | instid1(VALU_DEP_3)
	v_fma_f32 v56, -v51, v48, v43
	v_fma_f32 v57, -v54, v48, v43
	s_delay_alu instid0(VALU_DEP_2) | instskip(SKIP_1) | instid1(VALU_DEP_1)
	v_cmp_ge_f32_e64 s5, 0, v56
	s_wait_alu 0xf1ff
	v_cndmask_b32_e64 v48, v48, v51, s5
	s_delay_alu instid0(VALU_DEP_3) | instskip(SKIP_1) | instid1(VALU_DEP_1)
	v_cmp_lt_f32_e64 s5, 0, v57
	s_wait_alu 0xf1ff
	v_cndmask_b32_e64 v48, v48, v54, s5
	v_add_f32_e32 v11, v11, v38
	s_delay_alu instid0(VALU_DEP_1) | instskip(SKIP_1) | instid1(VALU_DEP_2)
	v_div_scale_f32 v16, null, v11, v11, v18
	v_div_scale_f32 v50, vcc_lo, v18, v11, v18
	v_rcp_f32_e32 v42, v16
	s_delay_alu instid0(TRANS32_DEP_1) | instskip(NEXT) | instid1(VALU_DEP_1)
	v_fma_f32 v47, -v16, v42, 1.0
	v_fmac_f32_e32 v42, v47, v42
	v_div_scale_f32 v47, s4, v17, s31, v17
	s_delay_alu instid0(VALU_DEP_2) | instskip(NEXT) | instid1(VALU_DEP_2)
	v_mul_f32_e32 v49, v50, v42
	v_mul_f32_e32 v53, v47, v44
	s_delay_alu instid0(VALU_DEP_2) | instskip(NEXT) | instid1(VALU_DEP_2)
	v_fma_f32 v55, -v16, v49, v50
	v_fma_f32 v52, -v22, v53, v47
	s_delay_alu instid0(VALU_DEP_2) | instskip(NEXT) | instid1(VALU_DEP_2)
	v_fmac_f32_e32 v49, v55, v42
	v_fmac_f32_e32 v53, v52, v44
	s_delay_alu instid0(VALU_DEP_2) | instskip(NEXT) | instid1(VALU_DEP_2)
	v_fma_f32 v16, -v16, v49, v50
	v_fma_f32 v22, -v22, v53, v47
	s_wait_alu 0xfffd
	s_delay_alu instid0(VALU_DEP_2)
	v_div_fmas_f32 v42, v16, v42, v49
	s_mov_b32 vcc_lo, s4
	s_wait_alu 0xfffe
	v_div_fmas_f32 v16, v22, v44, v53
	v_mul_f32_e32 v22, 0x37800000, v48
	v_cmp_class_f32_e64 vcc_lo, v43, 0x260
	v_mul_f32_e32 v44, v45, v45
	v_div_fixup_f32 v11, v42, v11, v18
	v_div_fixup_f32 v10, v16, s31, v17
	v_cndmask_b32_e64 v17, v48, v22, s3
	s_delay_alu instid0(VALU_DEP_4) | instskip(SKIP_2) | instid1(VALU_DEP_3)
	v_fma_f32 v16, -v34, v44, v44
	v_mul_f32_e32 v44, v41, v20
	s_wait_alu 0xfffd
	v_dual_add_f32 v10, v10, v38 :: v_dual_cndmask_b32 v17, v17, v43
	v_sub_f32_e32 v7, v7, v11
	v_fmac_f32_e32 v16, v34, v19
	s_delay_alu instid0(VALU_DEP_3) | instskip(NEXT) | instid1(VALU_DEP_4)
	v_div_scale_f32 v22, null, v10, v10, v44
	v_div_scale_f32 v43, null, s31, s31, v17
	s_delay_alu instid0(VALU_DEP_3) | instskip(SKIP_1) | instid1(VALU_DEP_4)
	v_mul_f32_e32 v19, 0x4f800000, v16
	v_cmp_gt_f32_e64 s3, 0xf800000, v16
	v_rcp_f32_e32 v47, v22
	s_delay_alu instid0(VALU_DEP_3) | instskip(SKIP_3) | instid1(VALU_DEP_1)
	v_rcp_f32_e32 v48, v43
	v_div_scale_f32 v52, vcc_lo, v44, v10, v44
	s_wait_alu 0xf1ff
	v_cndmask_b32_e64 v49, v16, v19, s3
	v_sqrt_f32_e32 v50, v49
	s_delay_alu instid0(TRANS32_DEP_3) | instskip(NEXT) | instid1(TRANS32_DEP_2)
	v_fma_f32 v19, -v22, v47, 1.0
	v_fma_f32 v51, -v43, v48, 1.0
	s_delay_alu instid0(VALU_DEP_1)
	v_fmac_f32_e32 v48, v51, v48
	v_div_scale_f32 v53, s4, v17, s31, v17
	s_delay_alu instid0(TRANS32_DEP_1) | instid1(VALU_DEP_1)
	v_dual_mul_f32 v54, v53, v48 :: v_dual_add_nc_u32 v55, 1, v50
	s_delay_alu instid0(VALU_DEP_1) | instskip(NEXT) | instid1(VALU_DEP_2)
	v_fma_f32 v59, -v55, v50, v49
	v_fma_f32 v58, -v43, v54, v53
	v_fmac_f32_e32 v47, v19, v47
	s_delay_alu instid0(VALU_DEP_2) | instskip(NEXT) | instid1(VALU_DEP_2)
	v_dual_fmac_f32 v54, v58, v48 :: v_dual_add_nc_u32 v19, -1, v50
	v_mul_f32_e32 v51, v52, v47
	s_delay_alu instid0(VALU_DEP_2) | instskip(NEXT) | instid1(VALU_DEP_3)
	v_fma_f32 v57, -v19, v50, v49
	v_fma_f32 v43, -v43, v54, v53
	s_delay_alu instid0(VALU_DEP_3) | instskip(NEXT) | instid1(VALU_DEP_3)
	v_fma_f32 v56, -v22, v51, v52
	v_cmp_ge_f32_e64 s5, 0, v57
	s_delay_alu instid0(VALU_DEP_2) | instskip(SKIP_1) | instid1(VALU_DEP_2)
	v_fmac_f32_e32 v51, v56, v47
	s_wait_alu 0xf1ff
	v_cndmask_b32_e64 v50, v50, v19, s5
	v_cmp_lt_f32_e64 s5, 0, v59
	v_fma_f32 v19, -v35, v46, v46
	v_fma_f32 v22, -v22, v51, v52
	s_wait_alu 0xf1ff
	s_delay_alu instid0(VALU_DEP_3) | instskip(NEXT) | instid1(VALU_DEP_3)
	v_cndmask_b32_e64 v46, v50, v55, s5
	v_fmac_f32_e32 v19, v35, v9
	s_wait_alu 0xfffd
	v_div_fmas_f32 v47, v22, v47, v51
	s_mov_b32 vcc_lo, s4
	s_wait_alu 0xfffe
	v_div_fmas_f32 v22, v43, v48, v54
	v_mul_f32_e32 v43, 0x37800000, v46
	v_cmp_class_f32_e64 vcc_lo, v49, 0x260
	v_div_fixup_f32 v10, v47, v10, v44
	s_delay_alu instid0(VALU_DEP_4) | instskip(NEXT) | instid1(VALU_DEP_4)
	v_div_fixup_f32 v9, v22, s31, v17
	v_cndmask_b32_e64 v17, v46, v43, s3
	s_delay_alu instid0(VALU_DEP_3) | instskip(NEXT) | instid1(VALU_DEP_3)
	v_dual_mul_f32 v43, v41, v19 :: v_dual_sub_f32 v6, v6, v10
	v_add_f32_e32 v9, v9, v38
	s_wait_alu 0xfffd
	s_delay_alu instid0(VALU_DEP_3) | instskip(NEXT) | instid1(VALU_DEP_2)
	v_cndmask_b32_e32 v17, v17, v49, vcc_lo
	v_div_scale_f32 v22, null, v9, v9, v43
	s_delay_alu instid0(VALU_DEP_2) | instskip(SKIP_1) | instid1(VALU_DEP_3)
	v_div_scale_f32 v46, null, s31, s31, v17
	v_div_scale_f32 v52, vcc_lo, v43, v9, v43
	v_rcp_f32_e32 v48, v22
	s_delay_alu instid0(VALU_DEP_2) | instskip(NEXT) | instid1(TRANS32_DEP_2)
	v_rcp_f32_e32 v49, v46
	v_fma_f32 v50, -v22, v48, 1.0
	s_delay_alu instid0(TRANS32_DEP_1) | instskip(NEXT) | instid1(VALU_DEP_2)
	v_fma_f32 v51, -v46, v49, 1.0
	v_fmac_f32_e32 v48, v50, v48
	v_div_scale_f32 v50, s3, v17, s31, v17
	s_delay_alu instid0(VALU_DEP_3) | instskip(NEXT) | instid1(VALU_DEP_3)
	v_fmac_f32_e32 v49, v51, v49
	v_mul_f32_e32 v51, v52, v48
	s_delay_alu instid0(VALU_DEP_2) | instskip(NEXT) | instid1(VALU_DEP_2)
	v_mul_f32_e32 v53, v50, v49
	v_fma_f32 v54, -v22, v51, v52
	s_delay_alu instid0(VALU_DEP_2) | instskip(NEXT) | instid1(VALU_DEP_2)
	v_fma_f32 v55, -v46, v53, v50
	v_fmac_f32_e32 v51, v54, v48
	s_delay_alu instid0(VALU_DEP_2) | instskip(NEXT) | instid1(VALU_DEP_2)
	v_fmac_f32_e32 v53, v55, v49
	v_fma_f32 v52, -v22, v51, v52
	v_fma_f32 v22, -v35, v45, v45
	s_delay_alu instid0(VALU_DEP_3) | instskip(SKIP_1) | instid1(VALU_DEP_3)
	v_fma_f32 v45, -v46, v53, v50
	s_wait_alu 0xfffd
	v_div_fmas_f32 v46, v52, v48, v51
	s_mov_b32 vcc_lo, s3
	v_fmac_f32_e32 v22, v35, v12
	s_wait_alu 0xfffe
	v_div_fmas_f32 v45, v45, v49, v53
	v_div_fixup_f32 v9, v46, v9, v43
	s_delay_alu instid0(VALU_DEP_2) | instskip(SKIP_1) | instid1(VALU_DEP_2)
	v_div_fixup_f32 v12, v45, s31, v17
	v_mul_f32_e32 v17, v41, v22
	v_dual_sub_f32 v5, v5, v9 :: v_dual_add_f32 v12, v12, v38
	s_delay_alu instid0(VALU_DEP_1) | instskip(NEXT) | instid1(VALU_DEP_1)
	v_div_scale_f32 v45, null, v12, v12, v17
	v_rcp_f32_e32 v48, v45
	s_delay_alu instid0(TRANS32_DEP_1) | instskip(NEXT) | instid1(VALU_DEP_1)
	v_fma_f32 v49, -v45, v48, 1.0
	v_fmac_f32_e32 v48, v49, v48
	v_div_scale_f32 v49, vcc_lo, v17, v12, v17
	s_delay_alu instid0(VALU_DEP_1) | instskip(NEXT) | instid1(VALU_DEP_1)
	v_mul_f32_e32 v50, v49, v48
	v_fma_f32 v51, -v45, v50, v49
	s_delay_alu instid0(VALU_DEP_1) | instskip(NEXT) | instid1(VALU_DEP_1)
	v_fmac_f32_e32 v50, v51, v48
	v_fma_f32 v45, -v45, v50, v49
	s_wait_alu 0xfffd
	s_delay_alu instid0(VALU_DEP_1) | instskip(SKIP_1) | instid1(VALU_DEP_1)
	v_div_fmas_f32 v45, v45, v48, v50
	s_and_not1_b32 vcc_lo, exec_lo, s34
	v_div_fixup_f32 v12, v45, v12, v17
	s_delay_alu instid0(VALU_DEP_1)
	v_sub_f32_e32 v8, v8, v12
	global_store_b128 v[32:33], v[5:8], off
	s_wait_alu 0xfffe
	s_cbranch_vccnz .LBB2_9
; %bb.19:                               ;   in Loop: Header=BB2_10 Depth=1
	global_store_b128 v[30:31], v[1:4], off
	s_branch .LBB2_9
.LBB2_20:
                                        ; implicit-def: $sgpr2
	v_mov_b32_e32 v36, s2
	s_branch .LBB2_2
.LBB2_21:
	s_or_b32 exec_lo, exec_lo, s33
	s_mov_b32 s2, 0
.LBB2_22:
	s_wait_alu 0xfffe
	s_and_not1_b32 vcc_lo, exec_lo, s2
	s_wait_alu 0xfffe
	s_cbranch_vccnz .LBB2_84
; %bb.23:
	v_cmp_lt_i64_e64 s2, s[20:21], 1
	s_and_b32 vcc_lo, exec_lo, s2
	s_wait_alu 0xfffe
	s_cbranch_vccnz .LBB2_84
; %bb.24:
	v_div_scale_f32 v1, null, v39, v39, v36
	v_div_scale_f32 v4, vcc_lo, v36, v39, v36
	s_load_b32 s1, s[0:1], 0xd64
	v_rcp_f32_e32 v2, v1
	v_xor_b32_e32 v1, 0x80000000, v1
	v_cmp_gt_i64_e64 s2, 0x10000, s[20:21]
	v_cmp_gt_u64_e64 s3, 0x10000, s[20:21]
	v_cmp_neq_f32_e64 s0, 0, v37
	s_mov_b32 s17, 0
	s_mov_b64 s[22:23], 0
	v_mov_b32_e32 v9, 0
	s_and_b32 s2, s2, exec_lo
	s_cselect_b32 s19, s21, 0
	v_fma_f32 v3, v1, v2, 1.0
	s_cselect_b32 s18, s20, 0x10000
	s_delay_alu instid0(VALU_DEP_1) | instskip(SKIP_2) | instid1(VALU_DEP_1)
	v_fmac_f32_e32 v2, v3, v2
	s_wait_kmcnt 0x0
	s_and_b32 s24, s1, 0xffff
	v_mul_f32_e32 v3, v4, v2
	s_and_b32 s1, s3, exec_lo
	s_cselect_b32 s21, s21, 0
	s_cselect_b32 s20, s20, 0x10000
	s_wait_alu 0xfffe
	s_lshl_b32 s25, s24, 1
	v_fma_f32 v5, v1, v3, v4
	s_cmp_lg_u64 s[12:13], 0
	s_mul_i32 s27, s24, 3
	s_cselect_b32 s26, -1, 0
	s_lshl_b32 s16, s24, 2
	v_fmac_f32_e32 v3, v5, v2
	s_delay_alu instid0(VALU_DEP_1) | instskip(NEXT) | instid1(VALU_DEP_1)
	v_fmac_f32_e32 v4, v1, v3
	v_div_fmas_f32 v1, v4, v2, v3
	s_delay_alu instid0(VALU_DEP_1)
	v_div_fixup_f32 v10, v1, v39, v36
	s_branch .LBB2_26
.LBB2_25:                               ;   in Loop: Header=BB2_26 Depth=1
	s_wait_alu 0xfffe
	s_or_b32 exec_lo, exec_lo, s1
	s_add_nc_u64 s[22:23], s[22:23], s[16:17]
	s_wait_alu 0xfffe
	v_cmp_ge_i64_e64 s1, s[22:23], s[18:19]
	s_and_b32 vcc_lo, exec_lo, s1
	s_wait_alu 0xfffe
	s_cbranch_vccnz .LBB2_84
.LBB2_26:                               ; =>This Inner Loop Header: Depth=1
	v_add_co_u32 v1, s1, s22, v0
	s_wait_alu 0xf1ff
	v_add_co_ci_u32_e64 v2, null, s23, 0, s1
	v_dual_mov_b32 v11, 0 :: v_dual_mov_b32 v20, 0
	s_delay_alu instid0(VALU_DEP_2)
	v_cmp_gt_u64_e32 vcc_lo, s[20:21], v[1:2]
	s_and_saveexec_b32 s2, vcc_lo
	s_cbranch_execz .LBB2_28
; %bb.27:                               ;   in Loop: Header=BB2_26 Depth=1
	v_lshlrev_b64_e32 v[3:4], 2, v[1:2]
	s_delay_alu instid0(VALU_DEP_1) | instskip(SKIP_1) | instid1(VALU_DEP_2)
	v_add_co_u32 v5, s1, s6, v3
	s_wait_alu 0xf1ff
	v_add_co_ci_u32_e64 v6, null, s7, v4, s1
	v_add_co_u32 v3, s1, s8, v3
	s_wait_alu 0xf1ff
	v_add_co_ci_u32_e64 v4, null, s9, v4, s1
	global_load_b32 v20, v[5:6], off
	global_load_b32 v11, v[3:4], off
.LBB2_28:                               ;   in Loop: Header=BB2_26 Depth=1
	s_wait_alu 0xfffe
	s_or_b32 exec_lo, exec_lo, s2
	v_mov_b32_e32 v12, 0
	v_mov_b32_e32 v26, 0
	;; [unrolled: 1-line block ×3, first 2 shown]
	s_and_saveexec_b32 s1, vcc_lo
	s_cbranch_execz .LBB2_30
; %bb.29:                               ;   in Loop: Header=BB2_26 Depth=1
	v_lshlrev_b64_e32 v[3:4], 2, v[1:2]
	s_delay_alu instid0(VALU_DEP_1) | instskip(SKIP_1) | instid1(VALU_DEP_2)
	v_add_co_u32 v5, vcc_lo, s10, v3
	s_wait_alu 0xfffd
	v_add_co_ci_u32_e64 v6, null, s11, v4, vcc_lo
	v_add_co_u32 v3, vcc_lo, s14, v3
	s_wait_alu 0xfffd
	v_add_co_ci_u32_e64 v4, null, s15, v4, vcc_lo
	global_load_b32 v28, v[5:6], off
	global_load_b32 v26, v[3:4], off
.LBB2_30:                               ;   in Loop: Header=BB2_26 Depth=1
	s_wait_alu 0xfffe
	s_or_b32 exec_lo, exec_lo, s1
	v_add_co_u32 v3, vcc_lo, v1, s24
	s_wait_alu 0xfffd
	v_add_co_ci_u32_e64 v4, null, 0, v2, vcc_lo
	v_mov_b32_e32 v18, 0
	s_delay_alu instid0(VALU_DEP_2)
	v_cmp_gt_u64_e32 vcc_lo, s[20:21], v[3:4]
	s_and_saveexec_b32 s2, vcc_lo
	s_cbranch_execz .LBB2_32
; %bb.31:                               ;   in Loop: Header=BB2_26 Depth=1
	v_lshlrev_b64_e32 v[5:6], 2, v[3:4]
	s_delay_alu instid0(VALU_DEP_1) | instskip(SKIP_1) | instid1(VALU_DEP_2)
	v_add_co_u32 v7, s1, s6, v5
	s_wait_alu 0xf1ff
	v_add_co_ci_u32_e64 v8, null, s7, v6, s1
	v_add_co_u32 v5, s1, s8, v5
	s_wait_alu 0xf1ff
	v_add_co_ci_u32_e64 v6, null, s9, v6, s1
	global_load_b32 v18, v[7:8], off
	global_load_b32 v12, v[5:6], off
.LBB2_32:                               ;   in Loop: Header=BB2_26 Depth=1
	s_wait_alu 0xfffe
	s_or_b32 exec_lo, exec_lo, s2
	v_mov_b32_e32 v13, 0
	v_mov_b32_e32 v25, 0
	;; [unrolled: 1-line block ×3, first 2 shown]
	s_and_saveexec_b32 s1, vcc_lo
	s_cbranch_execz .LBB2_34
; %bb.33:                               ;   in Loop: Header=BB2_26 Depth=1
	v_lshlrev_b64_e32 v[5:6], 2, v[3:4]
	s_delay_alu instid0(VALU_DEP_1) | instskip(SKIP_1) | instid1(VALU_DEP_2)
	v_add_co_u32 v7, vcc_lo, s10, v5
	s_wait_alu 0xfffd
	v_add_co_ci_u32_e64 v8, null, s11, v6, vcc_lo
	v_add_co_u32 v5, vcc_lo, s14, v5
	s_wait_alu 0xfffd
	v_add_co_ci_u32_e64 v6, null, s15, v6, vcc_lo
	global_load_b32 v27, v[7:8], off
	global_load_b32 v25, v[5:6], off
.LBB2_34:                               ;   in Loop: Header=BB2_26 Depth=1
	s_wait_alu 0xfffe
	s_or_b32 exec_lo, exec_lo, s1
	v_add_co_u32 v5, vcc_lo, v1, s25
	s_wait_alu 0xfffd
	v_add_co_ci_u32_e64 v6, null, 0, v2, vcc_lo
	v_mov_b32_e32 v17, 0
	s_delay_alu instid0(VALU_DEP_2)
	v_cmp_gt_u64_e32 vcc_lo, s[20:21], v[5:6]
	s_and_saveexec_b32 s2, vcc_lo
	s_cbranch_execz .LBB2_36
; %bb.35:                               ;   in Loop: Header=BB2_26 Depth=1
	v_lshlrev_b64_e32 v[7:8], 2, v[5:6]
	s_delay_alu instid0(VALU_DEP_1) | instskip(SKIP_1) | instid1(VALU_DEP_2)
	v_add_co_u32 v13, s1, s6, v7
	s_wait_alu 0xf1ff
	v_add_co_ci_u32_e64 v14, null, s7, v8, s1
	v_add_co_u32 v7, s1, s8, v7
	s_wait_alu 0xf1ff
	v_add_co_ci_u32_e64 v8, null, s9, v8, s1
	global_load_b32 v17, v[13:14], off
	global_load_b32 v13, v[7:8], off
.LBB2_36:                               ;   in Loop: Header=BB2_26 Depth=1
	s_wait_alu 0xfffe
	s_or_b32 exec_lo, exec_lo, s2
	v_dual_mov_b32 v14, 0 :: v_dual_mov_b32 v23, 0
	v_mov_b32_e32 v24, 0
	s_and_saveexec_b32 s1, vcc_lo
	s_cbranch_execz .LBB2_38
; %bb.37:                               ;   in Loop: Header=BB2_26 Depth=1
	v_lshlrev_b64_e32 v[7:8], 2, v[5:6]
	s_delay_alu instid0(VALU_DEP_1) | instskip(SKIP_1) | instid1(VALU_DEP_2)
	v_add_co_u32 v15, vcc_lo, s10, v7
	s_wait_alu 0xfffd
	v_add_co_ci_u32_e64 v16, null, s11, v8, vcc_lo
	v_add_co_u32 v7, vcc_lo, s14, v7
	s_wait_alu 0xfffd
	v_add_co_ci_u32_e64 v8, null, s15, v8, vcc_lo
	global_load_b32 v24, v[15:16], off
	global_load_b32 v23, v[7:8], off
.LBB2_38:                               ;   in Loop: Header=BB2_26 Depth=1
	s_wait_alu 0xfffe
	s_or_b32 exec_lo, exec_lo, s1
	v_add_co_u32 v7, vcc_lo, v1, s27
	s_wait_alu 0xfffd
	v_add_co_ci_u32_e64 v8, null, 0, v2, vcc_lo
	v_mov_b32_e32 v15, 0
	s_delay_alu instid0(VALU_DEP_2)
	v_cmp_gt_u64_e32 vcc_lo, s[20:21], v[7:8]
	s_and_saveexec_b32 s2, vcc_lo
	s_cbranch_execz .LBB2_40
; %bb.39:                               ;   in Loop: Header=BB2_26 Depth=1
	v_lshlrev_b64_e32 v[14:15], 2, v[7:8]
	s_delay_alu instid0(VALU_DEP_1) | instskip(SKIP_1) | instid1(VALU_DEP_2)
	v_add_co_u32 v21, s1, s6, v14
	s_wait_alu 0xf1ff
	v_add_co_ci_u32_e64 v22, null, s7, v15, s1
	v_add_co_u32 v29, s1, s8, v14
	s_wait_alu 0xf1ff
	v_add_co_ci_u32_e64 v30, null, s9, v15, s1
	global_load_b32 v15, v[21:22], off
	global_load_b32 v14, v[29:30], off
.LBB2_40:                               ;   in Loop: Header=BB2_26 Depth=1
	s_wait_alu 0xfffe
	s_or_b32 exec_lo, exec_lo, s2
	v_dual_mov_b32 v21, 0 :: v_dual_mov_b32 v22, 0
	s_and_saveexec_b32 s1, vcc_lo
	s_cbranch_execz .LBB2_42
; %bb.41:                               ;   in Loop: Header=BB2_26 Depth=1
	v_lshlrev_b64_e32 v[21:22], 2, v[7:8]
	s_delay_alu instid0(VALU_DEP_1) | instskip(SKIP_1) | instid1(VALU_DEP_2)
	v_add_co_u32 v29, vcc_lo, s10, v21
	s_wait_alu 0xfffd
	v_add_co_ci_u32_e64 v30, null, s11, v22, vcc_lo
	v_add_co_u32 v31, vcc_lo, s14, v21
	s_wait_alu 0xfffd
	v_add_co_ci_u32_e64 v32, null, s15, v22, vcc_lo
	global_load_b32 v22, v[29:30], off
	global_load_b32 v21, v[31:32], off
.LBB2_42:                               ;   in Loop: Header=BB2_26 Depth=1
	s_wait_alu 0xfffe
	s_or_b32 exec_lo, exec_lo, s1
	s_delay_alu instid0(SALU_CYCLE_1)
	s_and_not1_b32 vcc_lo, exec_lo, s26
	s_wait_alu 0xfffe
	s_cbranch_vccnz .LBB2_44
; %bb.43:                               ;   in Loop: Header=BB2_26 Depth=1
	global_load_b32 v16, v9, s[12:13]
	s_wait_loadcnt 0x0
	v_div_scale_f32 v19, null, v16, v16, v11
	s_delay_alu instid0(VALU_DEP_1) | instskip(NEXT) | instid1(TRANS32_DEP_1)
	v_rcp_f32_e32 v29, v19
	v_fma_f32 v30, -v19, v29, 1.0
	s_delay_alu instid0(VALU_DEP_1) | instskip(SKIP_1) | instid1(VALU_DEP_1)
	v_fmac_f32_e32 v29, v30, v29
	v_div_scale_f32 v30, vcc_lo, v11, v16, v11
	v_mul_f32_e32 v31, v30, v29
	s_delay_alu instid0(VALU_DEP_1) | instskip(NEXT) | instid1(VALU_DEP_1)
	v_fma_f32 v32, -v19, v31, v30
	v_fmac_f32_e32 v31, v32, v29
	s_delay_alu instid0(VALU_DEP_1) | instskip(SKIP_1) | instid1(VALU_DEP_1)
	v_fma_f32 v19, -v19, v31, v30
	s_wait_alu 0xfffd
	v_div_fmas_f32 v19, v19, v29, v31
	s_delay_alu instid0(VALU_DEP_1)
	v_div_fixup_f32 v11, v19, v16, v11
.LBB2_44:                               ;   in Loop: Header=BB2_26 Depth=1
	s_and_not1_b32 vcc_lo, exec_lo, s26
	s_wait_alu 0xfffe
	s_cbranch_vccnz .LBB2_46
; %bb.45:                               ;   in Loop: Header=BB2_26 Depth=1
	global_load_b32 v16, v9, s[12:13]
	s_wait_loadcnt 0x0
	v_div_scale_f32 v19, null, v16, v16, v12
	s_delay_alu instid0(VALU_DEP_1) | instskip(NEXT) | instid1(TRANS32_DEP_1)
	v_rcp_f32_e32 v29, v19
	v_fma_f32 v30, -v19, v29, 1.0
	s_delay_alu instid0(VALU_DEP_1) | instskip(SKIP_1) | instid1(VALU_DEP_1)
	v_fmac_f32_e32 v29, v30, v29
	v_div_scale_f32 v30, vcc_lo, v12, v16, v12
	v_mul_f32_e32 v31, v30, v29
	s_delay_alu instid0(VALU_DEP_1) | instskip(NEXT) | instid1(VALU_DEP_1)
	v_fma_f32 v32, -v19, v31, v30
	v_fmac_f32_e32 v31, v32, v29
	s_delay_alu instid0(VALU_DEP_1) | instskip(SKIP_1) | instid1(VALU_DEP_1)
	v_fma_f32 v19, -v19, v31, v30
	s_wait_alu 0xfffd
	v_div_fmas_f32 v19, v19, v29, v31
	s_delay_alu instid0(VALU_DEP_1)
	v_div_fixup_f32 v12, v19, v16, v12
.LBB2_46:                               ;   in Loop: Header=BB2_26 Depth=1
	;; [unrolled: 24-line block ×4, first 2 shown]
	s_wait_loadcnt 0x0
	v_cndmask_b32_e64 v16, v11, -v11, s30
	v_cmp_gt_i64_e64 s1, s[18:19], v[1:2]
	s_delay_alu instid0(VALU_DEP_2) | instskip(NEXT) | instid1(VALU_DEP_1)
	v_fma_f32 v19, v20, v37, v16
	v_cndmask_b32_e64 v16, v16, v19, s0
	s_delay_alu instid0(VALU_DEP_1) | instskip(SKIP_1) | instid1(VALU_DEP_2)
	v_mul_f32_e32 v29, v16, v16
	v_fma_f32 v19, -v35, v16, v16
	v_fma_f32 v16, -v34, v29, v29
	s_delay_alu instid0(VALU_DEP_1)
	v_dual_fmac_f32 v19, v35, v28 :: v_dual_fmac_f32 v16, v34, v26
	s_and_saveexec_b32 s3, s1
	s_cbranch_execz .LBB2_52
; %bb.51:                               ;   in Loop: Header=BB2_26 Depth=1
	s_delay_alu instid0(VALU_DEP_1) | instskip(SKIP_2) | instid1(VALU_DEP_2)
	v_mul_f32_e32 v26, 0x4f800000, v16
	v_cmp_gt_f32_e32 vcc_lo, 0xf800000, v16
	s_wait_alu 0xfffd
	v_cndmask_b32_e32 v26, v16, v26, vcc_lo
	s_delay_alu instid0(VALU_DEP_1) | instskip(NEXT) | instid1(TRANS32_DEP_1)
	v_sqrt_f32_e32 v28, v26
	v_add_nc_u32_e32 v29, -1, v28
	v_add_nc_u32_e32 v30, 1, v28
	s_delay_alu instid0(VALU_DEP_2) | instskip(NEXT) | instid1(VALU_DEP_2)
	v_fma_f32 v31, -v29, v28, v26
	v_fma_f32 v32, -v30, v28, v26
	s_delay_alu instid0(VALU_DEP_2) | instskip(SKIP_1) | instid1(VALU_DEP_1)
	v_cmp_ge_f32_e64 s2, 0, v31
	s_wait_alu 0xf1ff
	v_cndmask_b32_e64 v28, v28, v29, s2
	s_delay_alu instid0(VALU_DEP_3) | instskip(SKIP_1) | instid1(VALU_DEP_1)
	v_cmp_lt_f32_e64 s2, 0, v32
	s_wait_alu 0xf1ff
	v_cndmask_b32_e64 v28, v28, v30, s2
	s_delay_alu instid0(VALU_DEP_1) | instskip(NEXT) | instid1(VALU_DEP_1)
	v_mul_f32_e32 v29, 0x37800000, v28
	v_cndmask_b32_e32 v28, v28, v29, vcc_lo
	v_cmp_class_f32_e64 vcc_lo, v26, 0x260
	s_wait_alu 0xfffd
	s_delay_alu instid0(VALU_DEP_2) | instskip(NEXT) | instid1(VALU_DEP_1)
	v_cndmask_b32_e32 v26, v28, v26, vcc_lo
	v_div_scale_f32 v28, null, s31, s31, v26
	v_div_scale_f32 v31, vcc_lo, v26, s31, v26
	s_delay_alu instid0(VALU_DEP_2) | instskip(NEXT) | instid1(TRANS32_DEP_1)
	v_rcp_f32_e32 v29, v28
	v_fma_f32 v30, -v28, v29, 1.0
	s_delay_alu instid0(VALU_DEP_1) | instskip(NEXT) | instid1(VALU_DEP_1)
	v_fmac_f32_e32 v29, v30, v29
	v_mul_f32_e32 v30, v31, v29
	s_delay_alu instid0(VALU_DEP_1) | instskip(NEXT) | instid1(VALU_DEP_1)
	v_fma_f32 v32, -v28, v30, v31
	v_fmac_f32_e32 v30, v32, v29
	s_delay_alu instid0(VALU_DEP_1) | instskip(SKIP_1) | instid1(VALU_DEP_1)
	v_fma_f32 v28, -v28, v30, v31
	s_wait_alu 0xfffd
	v_div_fmas_f32 v28, v28, v29, v30
	s_delay_alu instid0(VALU_DEP_1) | instskip(SKIP_1) | instid1(VALU_DEP_2)
	v_div_fixup_f32 v26, v28, s31, v26
	v_mul_f32_e32 v28, v10, v19
	v_add_f32_e32 v26, v26, v38
	s_delay_alu instid0(VALU_DEP_1) | instskip(SKIP_1) | instid1(VALU_DEP_2)
	v_div_scale_f32 v29, null, v26, v26, v28
	v_div_scale_f32 v32, vcc_lo, v28, v26, v28
	v_rcp_f32_e32 v30, v29
	s_delay_alu instid0(TRANS32_DEP_1) | instskip(NEXT) | instid1(VALU_DEP_1)
	v_fma_f32 v31, -v29, v30, 1.0
	v_fmac_f32_e32 v30, v31, v30
	s_delay_alu instid0(VALU_DEP_1) | instskip(NEXT) | instid1(VALU_DEP_1)
	v_mul_f32_e32 v31, v32, v30
	v_fma_f32 v33, -v29, v31, v32
	s_delay_alu instid0(VALU_DEP_1) | instskip(NEXT) | instid1(VALU_DEP_1)
	v_fmac_f32_e32 v31, v33, v30
	v_fma_f32 v29, -v29, v31, v32
	s_wait_alu 0xfffd
	s_delay_alu instid0(VALU_DEP_1) | instskip(NEXT) | instid1(VALU_DEP_1)
	v_div_fmas_f32 v29, v29, v30, v31
	v_div_fixup_f32 v26, v29, v26, v28
	v_lshlrev_b64_e32 v[28:29], 2, v[1:2]
	s_delay_alu instid0(VALU_DEP_2) | instskip(NEXT) | instid1(VALU_DEP_2)
	v_sub_f32_e32 v20, v20, v26
	v_add_co_u32 v28, vcc_lo, s6, v28
	s_wait_alu 0xfffd
	s_delay_alu instid0(VALU_DEP_3)
	v_add_co_ci_u32_e64 v29, null, s7, v29, vcc_lo
	global_store_b32 v[28:29], v20, off
.LBB2_52:                               ;   in Loop: Header=BB2_26 Depth=1
	s_wait_alu 0xfffe
	s_or_b32 exec_lo, exec_lo, s3
	v_cndmask_b32_e64 v20, v12, -v12, s30
	v_cmp_gt_i64_e64 s2, s[18:19], v[3:4]
	s_delay_alu instid0(VALU_DEP_2) | instskip(NEXT) | instid1(VALU_DEP_1)
	v_fma_f32 v26, v18, v37, v20
	v_cndmask_b32_e64 v20, v20, v26, s0
	s_delay_alu instid0(VALU_DEP_1) | instskip(SKIP_1) | instid1(VALU_DEP_2)
	v_mul_f32_e32 v28, v20, v20
	v_fma_f32 v26, -v35, v20, v20
	v_fma_f32 v20, -v34, v28, v28
	s_delay_alu instid0(VALU_DEP_2) | instskip(NEXT) | instid1(VALU_DEP_2)
	v_fmac_f32_e32 v26, v35, v27
	v_fmac_f32_e32 v20, v34, v25
	s_and_saveexec_b32 s4, s2
	s_cbranch_execz .LBB2_54
; %bb.53:                               ;   in Loop: Header=BB2_26 Depth=1
	s_delay_alu instid0(VALU_DEP_1) | instskip(SKIP_2) | instid1(VALU_DEP_2)
	v_mul_f32_e32 v25, 0x4f800000, v20
	v_cmp_gt_f32_e32 vcc_lo, 0xf800000, v20
	s_wait_alu 0xfffd
	v_cndmask_b32_e32 v25, v20, v25, vcc_lo
	s_delay_alu instid0(VALU_DEP_1) | instskip(NEXT) | instid1(TRANS32_DEP_1)
	v_sqrt_f32_e32 v27, v25
	v_add_nc_u32_e32 v28, -1, v27
	v_add_nc_u32_e32 v29, 1, v27
	s_delay_alu instid0(VALU_DEP_2) | instskip(NEXT) | instid1(VALU_DEP_2)
	v_fma_f32 v30, -v28, v27, v25
	v_fma_f32 v31, -v29, v27, v25
	s_delay_alu instid0(VALU_DEP_2) | instskip(SKIP_1) | instid1(VALU_DEP_1)
	v_cmp_ge_f32_e64 s3, 0, v30
	s_wait_alu 0xf1ff
	v_cndmask_b32_e64 v27, v27, v28, s3
	s_delay_alu instid0(VALU_DEP_3) | instskip(SKIP_1) | instid1(VALU_DEP_1)
	v_cmp_lt_f32_e64 s3, 0, v31
	s_wait_alu 0xf1ff
	v_cndmask_b32_e64 v27, v27, v29, s3
	s_delay_alu instid0(VALU_DEP_1) | instskip(NEXT) | instid1(VALU_DEP_1)
	v_mul_f32_e32 v28, 0x37800000, v27
	v_cndmask_b32_e32 v27, v27, v28, vcc_lo
	v_cmp_class_f32_e64 vcc_lo, v25, 0x260
	s_wait_alu 0xfffd
	s_delay_alu instid0(VALU_DEP_2) | instskip(NEXT) | instid1(VALU_DEP_1)
	v_cndmask_b32_e32 v25, v27, v25, vcc_lo
	v_div_scale_f32 v27, null, s31, s31, v25
	s_delay_alu instid0(VALU_DEP_1) | instskip(NEXT) | instid1(TRANS32_DEP_1)
	v_rcp_f32_e32 v28, v27
	v_fma_f32 v29, -v27, v28, 1.0
	s_delay_alu instid0(VALU_DEP_1) | instskip(SKIP_1) | instid1(VALU_DEP_1)
	v_fmac_f32_e32 v28, v29, v28
	v_div_scale_f32 v30, vcc_lo, v25, s31, v25
	v_mul_f32_e32 v29, v30, v28
	s_delay_alu instid0(VALU_DEP_1) | instskip(NEXT) | instid1(VALU_DEP_1)
	v_fma_f32 v31, -v27, v29, v30
	v_fmac_f32_e32 v29, v31, v28
	s_delay_alu instid0(VALU_DEP_1) | instskip(SKIP_1) | instid1(VALU_DEP_1)
	v_fma_f32 v27, -v27, v29, v30
	s_wait_alu 0xfffd
	v_div_fmas_f32 v27, v27, v28, v29
	s_delay_alu instid0(VALU_DEP_1) | instskip(SKIP_1) | instid1(VALU_DEP_2)
	v_div_fixup_f32 v25, v27, s31, v25
	v_mul_f32_e32 v27, v10, v26
	v_add_f32_e32 v25, v25, v38
	s_delay_alu instid0(VALU_DEP_1) | instskip(SKIP_1) | instid1(VALU_DEP_2)
	v_div_scale_f32 v28, null, v25, v25, v27
	v_div_scale_f32 v31, vcc_lo, v27, v25, v27
	v_rcp_f32_e32 v29, v28
	s_delay_alu instid0(TRANS32_DEP_1) | instskip(NEXT) | instid1(VALU_DEP_1)
	v_fma_f32 v30, -v28, v29, 1.0
	v_fmac_f32_e32 v29, v30, v29
	s_delay_alu instid0(VALU_DEP_1) | instskip(NEXT) | instid1(VALU_DEP_1)
	v_mul_f32_e32 v30, v31, v29
	v_fma_f32 v32, -v28, v30, v31
	s_delay_alu instid0(VALU_DEP_1) | instskip(NEXT) | instid1(VALU_DEP_1)
	v_fmac_f32_e32 v30, v32, v29
	v_fma_f32 v28, -v28, v30, v31
	s_wait_alu 0xfffd
	s_delay_alu instid0(VALU_DEP_1) | instskip(NEXT) | instid1(VALU_DEP_1)
	v_div_fmas_f32 v28, v28, v29, v30
	v_div_fixup_f32 v25, v28, v25, v27
	v_lshlrev_b64_e32 v[27:28], 2, v[3:4]
	s_delay_alu instid0(VALU_DEP_2) | instskip(NEXT) | instid1(VALU_DEP_2)
	v_sub_f32_e32 v18, v18, v25
	v_add_co_u32 v27, vcc_lo, s6, v27
	s_wait_alu 0xfffd
	s_delay_alu instid0(VALU_DEP_3)
	v_add_co_ci_u32_e64 v28, null, s7, v28, vcc_lo
	global_store_b32 v[27:28], v18, off
.LBB2_54:                               ;   in Loop: Header=BB2_26 Depth=1
	s_wait_alu 0xfffe
	s_or_b32 exec_lo, exec_lo, s4
	v_cndmask_b32_e64 v18, v13, -v13, s30
	v_cmp_gt_i64_e64 s3, s[18:19], v[5:6]
	s_delay_alu instid0(VALU_DEP_2) | instskip(NEXT) | instid1(VALU_DEP_1)
	v_fma_f32 v25, v17, v37, v18
	v_cndmask_b32_e64 v18, v18, v25, s0
	s_delay_alu instid0(VALU_DEP_1) | instskip(SKIP_1) | instid1(VALU_DEP_2)
	v_mul_f32_e32 v27, v18, v18
	v_fma_f32 v25, -v35, v18, v18
	v_fma_f32 v18, -v34, v27, v27
	s_delay_alu instid0(VALU_DEP_1)
	v_dual_fmac_f32 v25, v35, v24 :: v_dual_fmac_f32 v18, v34, v23
	s_and_saveexec_b32 s5, s3
	s_cbranch_execz .LBB2_56
; %bb.55:                               ;   in Loop: Header=BB2_26 Depth=1
	s_delay_alu instid0(VALU_DEP_1) | instskip(SKIP_2) | instid1(VALU_DEP_2)
	v_mul_f32_e32 v23, 0x4f800000, v18
	v_cmp_gt_f32_e32 vcc_lo, 0xf800000, v18
	s_wait_alu 0xfffd
	v_cndmask_b32_e32 v23, v18, v23, vcc_lo
	s_delay_alu instid0(VALU_DEP_1) | instskip(NEXT) | instid1(TRANS32_DEP_1)
	v_sqrt_f32_e32 v24, v23
	v_add_nc_u32_e32 v27, -1, v24
	v_add_nc_u32_e32 v28, 1, v24
	s_delay_alu instid0(VALU_DEP_2) | instskip(NEXT) | instid1(VALU_DEP_2)
	v_fma_f32 v29, -v27, v24, v23
	v_fma_f32 v30, -v28, v24, v23
	s_delay_alu instid0(VALU_DEP_2) | instskip(SKIP_1) | instid1(VALU_DEP_1)
	v_cmp_ge_f32_e64 s4, 0, v29
	s_wait_alu 0xf1ff
	v_cndmask_b32_e64 v24, v24, v27, s4
	s_delay_alu instid0(VALU_DEP_3) | instskip(SKIP_1) | instid1(VALU_DEP_1)
	v_cmp_lt_f32_e64 s4, 0, v30
	s_wait_alu 0xf1ff
	v_cndmask_b32_e64 v24, v24, v28, s4
	s_delay_alu instid0(VALU_DEP_1) | instskip(NEXT) | instid1(VALU_DEP_1)
	v_mul_f32_e32 v27, 0x37800000, v24
	v_cndmask_b32_e32 v24, v24, v27, vcc_lo
	v_cmp_class_f32_e64 vcc_lo, v23, 0x260
	s_wait_alu 0xfffd
	s_delay_alu instid0(VALU_DEP_2) | instskip(NEXT) | instid1(VALU_DEP_1)
	v_cndmask_b32_e32 v23, v24, v23, vcc_lo
	v_div_scale_f32 v24, null, s31, s31, v23
	v_div_scale_f32 v29, vcc_lo, v23, s31, v23
	s_delay_alu instid0(VALU_DEP_2) | instskip(NEXT) | instid1(TRANS32_DEP_1)
	v_rcp_f32_e32 v27, v24
	v_fma_f32 v28, -v24, v27, 1.0
	s_delay_alu instid0(VALU_DEP_1) | instskip(NEXT) | instid1(VALU_DEP_1)
	v_fmac_f32_e32 v27, v28, v27
	v_mul_f32_e32 v28, v29, v27
	s_delay_alu instid0(VALU_DEP_1) | instskip(NEXT) | instid1(VALU_DEP_1)
	v_fma_f32 v30, -v24, v28, v29
	v_fmac_f32_e32 v28, v30, v27
	s_delay_alu instid0(VALU_DEP_1) | instskip(SKIP_1) | instid1(VALU_DEP_1)
	v_fma_f32 v24, -v24, v28, v29
	s_wait_alu 0xfffd
	v_div_fmas_f32 v24, v24, v27, v28
	s_delay_alu instid0(VALU_DEP_1) | instskip(NEXT) | instid1(VALU_DEP_1)
	v_div_fixup_f32 v23, v24, s31, v23
	v_dual_mul_f32 v24, v10, v25 :: v_dual_add_f32 v23, v23, v38
	s_delay_alu instid0(VALU_DEP_1) | instskip(SKIP_1) | instid1(VALU_DEP_2)
	v_div_scale_f32 v27, null, v23, v23, v24
	v_div_scale_f32 v30, vcc_lo, v24, v23, v24
	v_rcp_f32_e32 v28, v27
	s_delay_alu instid0(TRANS32_DEP_1) | instskip(NEXT) | instid1(VALU_DEP_1)
	v_fma_f32 v29, -v27, v28, 1.0
	v_fmac_f32_e32 v28, v29, v28
	s_delay_alu instid0(VALU_DEP_1) | instskip(NEXT) | instid1(VALU_DEP_1)
	v_mul_f32_e32 v29, v30, v28
	v_fma_f32 v31, -v27, v29, v30
	s_delay_alu instid0(VALU_DEP_1) | instskip(NEXT) | instid1(VALU_DEP_1)
	v_fmac_f32_e32 v29, v31, v28
	v_fma_f32 v27, -v27, v29, v30
	s_wait_alu 0xfffd
	s_delay_alu instid0(VALU_DEP_1) | instskip(NEXT) | instid1(VALU_DEP_1)
	v_div_fmas_f32 v27, v27, v28, v29
	v_div_fixup_f32 v27, v27, v23, v24
	v_lshlrev_b64_e32 v[23:24], 2, v[5:6]
	s_delay_alu instid0(VALU_DEP_2) | instskip(NEXT) | instid1(VALU_DEP_2)
	v_sub_f32_e32 v17, v17, v27
	v_add_co_u32 v23, vcc_lo, s6, v23
	s_wait_alu 0xfffd
	s_delay_alu instid0(VALU_DEP_3)
	v_add_co_ci_u32_e64 v24, null, s7, v24, vcc_lo
	global_store_b32 v[23:24], v17, off
.LBB2_56:                               ;   in Loop: Header=BB2_26 Depth=1
	s_wait_alu 0xfffe
	s_or_b32 exec_lo, exec_lo, s5
	v_cndmask_b32_e64 v17, v14, -v14, s30
	v_cmp_gt_i64_e64 s4, s[18:19], v[7:8]
	s_delay_alu instid0(VALU_DEP_2) | instskip(NEXT) | instid1(VALU_DEP_1)
	v_fma_f32 v23, v15, v37, v17
	v_cndmask_b32_e64 v17, v17, v23, s0
	s_delay_alu instid0(VALU_DEP_1) | instskip(NEXT) | instid1(VALU_DEP_1)
	v_fma_f32 v23, -v35, v17, v17
	v_dual_mul_f32 v24, v17, v17 :: v_dual_fmac_f32 v23, v35, v22
	s_delay_alu instid0(VALU_DEP_1) | instskip(NEXT) | instid1(VALU_DEP_1)
	v_fma_f32 v17, -v34, v24, v24
	v_fmac_f32_e32 v17, v34, v21
	s_and_saveexec_b32 s28, s4
	s_cbranch_execz .LBB2_58
; %bb.57:                               ;   in Loop: Header=BB2_26 Depth=1
	s_delay_alu instid0(VALU_DEP_1) | instskip(SKIP_2) | instid1(VALU_DEP_2)
	v_mul_f32_e32 v21, 0x4f800000, v17
	v_cmp_gt_f32_e32 vcc_lo, 0xf800000, v17
	s_wait_alu 0xfffd
	v_cndmask_b32_e32 v21, v17, v21, vcc_lo
	s_delay_alu instid0(VALU_DEP_1) | instskip(NEXT) | instid1(TRANS32_DEP_1)
	v_sqrt_f32_e32 v22, v21
	v_add_nc_u32_e32 v24, -1, v22
	v_add_nc_u32_e32 v27, 1, v22
	s_delay_alu instid0(VALU_DEP_2) | instskip(NEXT) | instid1(VALU_DEP_2)
	v_fma_f32 v28, -v24, v22, v21
	v_fma_f32 v29, -v27, v22, v21
	s_delay_alu instid0(VALU_DEP_2) | instskip(SKIP_1) | instid1(VALU_DEP_1)
	v_cmp_ge_f32_e64 s5, 0, v28
	s_wait_alu 0xf1ff
	v_cndmask_b32_e64 v22, v22, v24, s5
	s_delay_alu instid0(VALU_DEP_3) | instskip(SKIP_1) | instid1(VALU_DEP_1)
	v_cmp_lt_f32_e64 s5, 0, v29
	s_wait_alu 0xf1ff
	v_cndmask_b32_e64 v22, v22, v27, s5
	s_delay_alu instid0(VALU_DEP_1) | instskip(NEXT) | instid1(VALU_DEP_1)
	v_mul_f32_e32 v24, 0x37800000, v22
	v_cndmask_b32_e32 v22, v22, v24, vcc_lo
	v_cmp_class_f32_e64 vcc_lo, v21, 0x260
	s_wait_alu 0xfffd
	s_delay_alu instid0(VALU_DEP_2) | instskip(NEXT) | instid1(VALU_DEP_1)
	v_cndmask_b32_e32 v21, v22, v21, vcc_lo
	v_div_scale_f32 v22, null, s31, s31, v21
	s_delay_alu instid0(VALU_DEP_1) | instskip(NEXT) | instid1(TRANS32_DEP_1)
	v_rcp_f32_e32 v24, v22
	v_fma_f32 v27, -v22, v24, 1.0
	s_delay_alu instid0(VALU_DEP_1) | instskip(SKIP_1) | instid1(VALU_DEP_1)
	v_fmac_f32_e32 v24, v27, v24
	v_div_scale_f32 v28, vcc_lo, v21, s31, v21
	v_mul_f32_e32 v27, v28, v24
	s_delay_alu instid0(VALU_DEP_1) | instskip(NEXT) | instid1(VALU_DEP_1)
	v_fma_f32 v29, -v22, v27, v28
	v_fmac_f32_e32 v27, v29, v24
	s_delay_alu instid0(VALU_DEP_1) | instskip(SKIP_1) | instid1(VALU_DEP_1)
	v_fma_f32 v22, -v22, v27, v28
	s_wait_alu 0xfffd
	v_div_fmas_f32 v22, v22, v24, v27
	s_delay_alu instid0(VALU_DEP_1) | instskip(NEXT) | instid1(VALU_DEP_1)
	v_div_fixup_f32 v21, v22, s31, v21
	v_dual_mul_f32 v22, v10, v23 :: v_dual_add_f32 v21, v21, v38
	s_delay_alu instid0(VALU_DEP_1) | instskip(SKIP_1) | instid1(VALU_DEP_2)
	v_div_scale_f32 v24, null, v21, v21, v22
	v_div_scale_f32 v29, vcc_lo, v22, v21, v22
	v_rcp_f32_e32 v27, v24
	s_delay_alu instid0(TRANS32_DEP_1) | instskip(NEXT) | instid1(VALU_DEP_1)
	v_fma_f32 v28, -v24, v27, 1.0
	v_fmac_f32_e32 v27, v28, v27
	s_delay_alu instid0(VALU_DEP_1) | instskip(NEXT) | instid1(VALU_DEP_1)
	v_mul_f32_e32 v28, v29, v27
	v_fma_f32 v30, -v24, v28, v29
	s_delay_alu instid0(VALU_DEP_1) | instskip(NEXT) | instid1(VALU_DEP_1)
	v_fmac_f32_e32 v28, v30, v27
	v_fma_f32 v24, -v24, v28, v29
	s_wait_alu 0xfffd
	s_delay_alu instid0(VALU_DEP_1) | instskip(NEXT) | instid1(VALU_DEP_1)
	v_div_fmas_f32 v24, v24, v27, v28
	v_div_fixup_f32 v24, v24, v21, v22
	v_lshlrev_b64_e32 v[21:22], 2, v[7:8]
	s_delay_alu instid0(VALU_DEP_2) | instskip(NEXT) | instid1(VALU_DEP_2)
	v_sub_f32_e32 v15, v15, v24
	v_add_co_u32 v21, vcc_lo, s6, v21
	s_wait_alu 0xfffd
	s_delay_alu instid0(VALU_DEP_3)
	v_add_co_ci_u32_e64 v22, null, s7, v22, vcc_lo
	global_store_b32 v[21:22], v15, off
.LBB2_58:                               ;   in Loop: Header=BB2_26 Depth=1
	s_wait_alu 0xfffe
	s_or_b32 exec_lo, exec_lo, s28
	s_delay_alu instid0(SALU_CYCLE_1)
	s_and_not1_b32 vcc_lo, exec_lo, s26
	s_wait_alu 0xfffe
	s_cbranch_vccnz .LBB2_65
; %bb.59:                               ;   in Loop: Header=BB2_26 Depth=1
	s_and_saveexec_b32 s5, s1
	s_cbranch_execnz .LBB2_81
; %bb.60:                               ;   in Loop: Header=BB2_26 Depth=1
	s_wait_alu 0xfffe
	s_or_b32 exec_lo, exec_lo, s5
	s_and_saveexec_b32 s5, s2
	s_cbranch_execnz .LBB2_82
.LBB2_61:                               ;   in Loop: Header=BB2_26 Depth=1
	s_wait_alu 0xfffe
	s_or_b32 exec_lo, exec_lo, s5
	s_and_saveexec_b32 s5, s3
	s_cbranch_execnz .LBB2_83
.LBB2_62:                               ;   in Loop: Header=BB2_26 Depth=1
	s_wait_alu 0xfffe
	s_or_b32 exec_lo, exec_lo, s5
	s_and_saveexec_b32 s5, s4
	s_cbranch_execz .LBB2_64
.LBB2_63:                               ;   in Loop: Header=BB2_26 Depth=1
	v_lshlrev_b64_e32 v[11:12], 2, v[7:8]
	s_delay_alu instid0(VALU_DEP_1) | instskip(SKIP_1) | instid1(VALU_DEP_2)
	v_add_co_u32 v11, vcc_lo, s8, v11
	s_wait_alu 0xfffd
	v_add_co_ci_u32_e64 v12, null, s9, v12, vcc_lo
	global_store_b32 v[11:12], v14, off
.LBB2_64:                               ;   in Loop: Header=BB2_26 Depth=1
	s_wait_alu 0xfffe
	s_or_b32 exec_lo, exec_lo, s5
.LBB2_65:                               ;   in Loop: Header=BB2_26 Depth=1
	s_and_saveexec_b32 s5, s1
	s_cbranch_execnz .LBB2_73
; %bb.66:                               ;   in Loop: Header=BB2_26 Depth=1
	s_wait_alu 0xfffe
	s_or_b32 exec_lo, exec_lo, s5
	s_and_saveexec_b32 s5, s2
	s_cbranch_execnz .LBB2_74
.LBB2_67:                               ;   in Loop: Header=BB2_26 Depth=1
	s_wait_alu 0xfffe
	s_or_b32 exec_lo, exec_lo, s5
	s_and_saveexec_b32 s5, s3
	s_cbranch_execnz .LBB2_75
.LBB2_68:                               ;   in Loop: Header=BB2_26 Depth=1
	s_wait_alu 0xfffe
	s_or_b32 exec_lo, exec_lo, s5
	s_and_saveexec_b32 s5, s4
	s_cbranch_execnz .LBB2_76
.LBB2_69:                               ;   in Loop: Header=BB2_26 Depth=1
	s_wait_alu 0xfffe
	s_or_b32 exec_lo, exec_lo, s5
	s_and_saveexec_b32 s5, s1
	s_cbranch_execnz .LBB2_77
.LBB2_70:                               ;   in Loop: Header=BB2_26 Depth=1
	s_wait_alu 0xfffe
	s_or_b32 exec_lo, exec_lo, s5
	s_and_saveexec_b32 s1, s2
	s_cbranch_execnz .LBB2_78
.LBB2_71:                               ;   in Loop: Header=BB2_26 Depth=1
	s_wait_alu 0xfffe
	s_or_b32 exec_lo, exec_lo, s1
	s_and_saveexec_b32 s1, s3
	s_cbranch_execnz .LBB2_79
.LBB2_72:                               ;   in Loop: Header=BB2_26 Depth=1
	s_wait_alu 0xfffe
	s_or_b32 exec_lo, exec_lo, s1
	s_and_saveexec_b32 s1, s4
	s_cbranch_execz .LBB2_25
	s_branch .LBB2_80
.LBB2_73:                               ;   in Loop: Header=BB2_26 Depth=1
	v_lshlrev_b64_e32 v[11:12], 2, v[1:2]
	s_delay_alu instid0(VALU_DEP_1) | instskip(SKIP_1) | instid1(VALU_DEP_2)
	v_add_co_u32 v11, vcc_lo, s10, v11
	s_wait_alu 0xfffd
	v_add_co_ci_u32_e64 v12, null, s11, v12, vcc_lo
	global_store_b32 v[11:12], v19, off
	s_wait_alu 0xfffe
	s_or_b32 exec_lo, exec_lo, s5
	s_and_saveexec_b32 s5, s2
	s_cbranch_execz .LBB2_67
.LBB2_74:                               ;   in Loop: Header=BB2_26 Depth=1
	v_lshlrev_b64_e32 v[11:12], 2, v[3:4]
	s_delay_alu instid0(VALU_DEP_1) | instskip(SKIP_1) | instid1(VALU_DEP_2)
	v_add_co_u32 v11, vcc_lo, s10, v11
	s_wait_alu 0xfffd
	v_add_co_ci_u32_e64 v12, null, s11, v12, vcc_lo
	global_store_b32 v[11:12], v26, off
	s_wait_alu 0xfffe
	s_or_b32 exec_lo, exec_lo, s5
	s_and_saveexec_b32 s5, s3
	s_cbranch_execz .LBB2_68
.LBB2_75:                               ;   in Loop: Header=BB2_26 Depth=1
	v_lshlrev_b64_e32 v[11:12], 2, v[5:6]
	s_delay_alu instid0(VALU_DEP_1) | instskip(SKIP_1) | instid1(VALU_DEP_2)
	v_add_co_u32 v11, vcc_lo, s10, v11
	s_wait_alu 0xfffd
	v_add_co_ci_u32_e64 v12, null, s11, v12, vcc_lo
	global_store_b32 v[11:12], v25, off
	s_wait_alu 0xfffe
	s_or_b32 exec_lo, exec_lo, s5
	s_and_saveexec_b32 s5, s4
	s_cbranch_execz .LBB2_69
.LBB2_76:                               ;   in Loop: Header=BB2_26 Depth=1
	v_lshlrev_b64_e32 v[11:12], 2, v[7:8]
	s_delay_alu instid0(VALU_DEP_1) | instskip(SKIP_1) | instid1(VALU_DEP_2)
	v_add_co_u32 v11, vcc_lo, s10, v11
	s_wait_alu 0xfffd
	v_add_co_ci_u32_e64 v12, null, s11, v12, vcc_lo
	global_store_b32 v[11:12], v23, off
	s_wait_alu 0xfffe
	s_or_b32 exec_lo, exec_lo, s5
	s_and_saveexec_b32 s5, s1
	s_cbranch_execz .LBB2_70
.LBB2_77:                               ;   in Loop: Header=BB2_26 Depth=1
	v_lshlrev_b64_e32 v[1:2], 2, v[1:2]
	s_delay_alu instid0(VALU_DEP_1) | instskip(SKIP_1) | instid1(VALU_DEP_2)
	v_add_co_u32 v1, vcc_lo, s14, v1
	s_wait_alu 0xfffd
	v_add_co_ci_u32_e64 v2, null, s15, v2, vcc_lo
	global_store_b32 v[1:2], v16, off
	s_wait_alu 0xfffe
	s_or_b32 exec_lo, exec_lo, s5
	s_and_saveexec_b32 s1, s2
	s_cbranch_execz .LBB2_71
.LBB2_78:                               ;   in Loop: Header=BB2_26 Depth=1
	v_lshlrev_b64_e32 v[1:2], 2, v[3:4]
	s_delay_alu instid0(VALU_DEP_1) | instskip(SKIP_1) | instid1(VALU_DEP_2)
	v_add_co_u32 v1, vcc_lo, s14, v1
	s_wait_alu 0xfffd
	v_add_co_ci_u32_e64 v2, null, s15, v2, vcc_lo
	global_store_b32 v[1:2], v20, off
	s_wait_alu 0xfffe
	s_or_b32 exec_lo, exec_lo, s1
	s_and_saveexec_b32 s1, s3
	s_cbranch_execz .LBB2_72
.LBB2_79:                               ;   in Loop: Header=BB2_26 Depth=1
	v_lshlrev_b64_e32 v[1:2], 2, v[5:6]
	s_delay_alu instid0(VALU_DEP_1) | instskip(SKIP_1) | instid1(VALU_DEP_2)
	v_add_co_u32 v1, vcc_lo, s14, v1
	s_wait_alu 0xfffd
	v_add_co_ci_u32_e64 v2, null, s15, v2, vcc_lo
	global_store_b32 v[1:2], v18, off
	s_wait_alu 0xfffe
	s_or_b32 exec_lo, exec_lo, s1
	s_and_saveexec_b32 s1, s4
	s_cbranch_execz .LBB2_25
.LBB2_80:                               ;   in Loop: Header=BB2_26 Depth=1
	v_lshlrev_b64_e32 v[1:2], 2, v[7:8]
	s_delay_alu instid0(VALU_DEP_1) | instskip(SKIP_1) | instid1(VALU_DEP_2)
	v_add_co_u32 v1, vcc_lo, s14, v1
	s_wait_alu 0xfffd
	v_add_co_ci_u32_e64 v2, null, s15, v2, vcc_lo
	global_store_b32 v[1:2], v17, off
	s_branch .LBB2_25
.LBB2_81:                               ;   in Loop: Header=BB2_26 Depth=1
	v_lshlrev_b64_e32 v[21:22], 2, v[1:2]
	s_delay_alu instid0(VALU_DEP_1) | instskip(SKIP_1) | instid1(VALU_DEP_2)
	v_add_co_u32 v21, vcc_lo, s8, v21
	s_wait_alu 0xfffd
	v_add_co_ci_u32_e64 v22, null, s9, v22, vcc_lo
	global_store_b32 v[21:22], v11, off
	s_wait_alu 0xfffe
	s_or_b32 exec_lo, exec_lo, s5
	s_and_saveexec_b32 s5, s2
	s_cbranch_execz .LBB2_61
.LBB2_82:                               ;   in Loop: Header=BB2_26 Depth=1
	v_lshlrev_b64_e32 v[21:22], 2, v[3:4]
	s_delay_alu instid0(VALU_DEP_1) | instskip(SKIP_1) | instid1(VALU_DEP_2)
	v_add_co_u32 v21, vcc_lo, s8, v21
	s_wait_alu 0xfffd
	v_add_co_ci_u32_e64 v22, null, s9, v22, vcc_lo
	global_store_b32 v[21:22], v12, off
	s_wait_alu 0xfffe
	s_or_b32 exec_lo, exec_lo, s5
	s_and_saveexec_b32 s5, s3
	s_cbranch_execz .LBB2_62
.LBB2_83:                               ;   in Loop: Header=BB2_26 Depth=1
	v_lshlrev_b64_e32 v[11:12], 2, v[5:6]
	s_delay_alu instid0(VALU_DEP_1) | instskip(SKIP_1) | instid1(VALU_DEP_2)
	v_add_co_u32 v11, vcc_lo, s8, v11
	s_wait_alu 0xfffd
	v_add_co_ci_u32_e64 v12, null, s9, v12, vcc_lo
	global_store_b32 v[11:12], v13, off
	s_wait_alu 0xfffe
	s_or_b32 exec_lo, exec_lo, s5
	s_and_saveexec_b32 s5, s4
	s_cbranch_execnz .LBB2_63
	s_branch .LBB2_64
.LBB2_84:
	s_endpgm
	.section	.rodata,"a",@progbits
	.p2align	6, 0x0
	.amdhsa_kernel _ZN2at6native12_GLOBAL__N_125multi_tensor_apply_kernelINS1_32FusedOptimizerTensorListMetadataILi4EEENS1_20FusedAdamMathFunctorIfLi4ELNS0_9ADAM_MODEE0ELb0EEEJPKfdddddbS9_S9_EEEvT_T0_DpT1_
		.amdhsa_group_segment_fixed_size 0
		.amdhsa_private_segment_fixed_size 0
		.amdhsa_kernarg_size 3672
		.amdhsa_user_sgpr_count 2
		.amdhsa_user_sgpr_dispatch_ptr 0
		.amdhsa_user_sgpr_queue_ptr 0
		.amdhsa_user_sgpr_kernarg_segment_ptr 1
		.amdhsa_user_sgpr_dispatch_id 0
		.amdhsa_user_sgpr_private_segment_size 0
		.amdhsa_wavefront_size32 1
		.amdhsa_uses_dynamic_stack 0
		.amdhsa_enable_private_segment 0
		.amdhsa_system_sgpr_workgroup_id_x 1
		.amdhsa_system_sgpr_workgroup_id_y 0
		.amdhsa_system_sgpr_workgroup_id_z 0
		.amdhsa_system_sgpr_workgroup_info 0
		.amdhsa_system_vgpr_workitem_id 0
		.amdhsa_next_free_vgpr 60
		.amdhsa_next_free_sgpr 37
		.amdhsa_reserve_vcc 1
		.amdhsa_float_round_mode_32 0
		.amdhsa_float_round_mode_16_64 0
		.amdhsa_float_denorm_mode_32 3
		.amdhsa_float_denorm_mode_16_64 3
		.amdhsa_fp16_overflow 0
		.amdhsa_workgroup_processor_mode 1
		.amdhsa_memory_ordered 1
		.amdhsa_forward_progress 1
		.amdhsa_inst_pref_size 84
		.amdhsa_round_robin_scheduling 0
		.amdhsa_exception_fp_ieee_invalid_op 0
		.amdhsa_exception_fp_denorm_src 0
		.amdhsa_exception_fp_ieee_div_zero 0
		.amdhsa_exception_fp_ieee_overflow 0
		.amdhsa_exception_fp_ieee_underflow 0
		.amdhsa_exception_fp_ieee_inexact 0
		.amdhsa_exception_int_div_zero 0
	.end_amdhsa_kernel
	.section	.text._ZN2at6native12_GLOBAL__N_125multi_tensor_apply_kernelINS1_32FusedOptimizerTensorListMetadataILi4EEENS1_20FusedAdamMathFunctorIfLi4ELNS0_9ADAM_MODEE0ELb0EEEJPKfdddddbS9_S9_EEEvT_T0_DpT1_,"axG",@progbits,_ZN2at6native12_GLOBAL__N_125multi_tensor_apply_kernelINS1_32FusedOptimizerTensorListMetadataILi4EEENS1_20FusedAdamMathFunctorIfLi4ELNS0_9ADAM_MODEE0ELb0EEEJPKfdddddbS9_S9_EEEvT_T0_DpT1_,comdat
.Lfunc_end2:
	.size	_ZN2at6native12_GLOBAL__N_125multi_tensor_apply_kernelINS1_32FusedOptimizerTensorListMetadataILi4EEENS1_20FusedAdamMathFunctorIfLi4ELNS0_9ADAM_MODEE0ELb0EEEJPKfdddddbS9_S9_EEEvT_T0_DpT1_, .Lfunc_end2-_ZN2at6native12_GLOBAL__N_125multi_tensor_apply_kernelINS1_32FusedOptimizerTensorListMetadataILi4EEENS1_20FusedAdamMathFunctorIfLi4ELNS0_9ADAM_MODEE0ELb0EEEJPKfdddddbS9_S9_EEEvT_T0_DpT1_
                                        ; -- End function
	.set _ZN2at6native12_GLOBAL__N_125multi_tensor_apply_kernelINS1_32FusedOptimizerTensorListMetadataILi4EEENS1_20FusedAdamMathFunctorIfLi4ELNS0_9ADAM_MODEE0ELb0EEEJPKfdddddbS9_S9_EEEvT_T0_DpT1_.num_vgpr, 60
	.set _ZN2at6native12_GLOBAL__N_125multi_tensor_apply_kernelINS1_32FusedOptimizerTensorListMetadataILi4EEENS1_20FusedAdamMathFunctorIfLi4ELNS0_9ADAM_MODEE0ELb0EEEJPKfdddddbS9_S9_EEEvT_T0_DpT1_.num_agpr, 0
	.set _ZN2at6native12_GLOBAL__N_125multi_tensor_apply_kernelINS1_32FusedOptimizerTensorListMetadataILi4EEENS1_20FusedAdamMathFunctorIfLi4ELNS0_9ADAM_MODEE0ELb0EEEJPKfdddddbS9_S9_EEEvT_T0_DpT1_.numbered_sgpr, 37
	.set _ZN2at6native12_GLOBAL__N_125multi_tensor_apply_kernelINS1_32FusedOptimizerTensorListMetadataILi4EEENS1_20FusedAdamMathFunctorIfLi4ELNS0_9ADAM_MODEE0ELb0EEEJPKfdddddbS9_S9_EEEvT_T0_DpT1_.num_named_barrier, 0
	.set _ZN2at6native12_GLOBAL__N_125multi_tensor_apply_kernelINS1_32FusedOptimizerTensorListMetadataILi4EEENS1_20FusedAdamMathFunctorIfLi4ELNS0_9ADAM_MODEE0ELb0EEEJPKfdddddbS9_S9_EEEvT_T0_DpT1_.private_seg_size, 0
	.set _ZN2at6native12_GLOBAL__N_125multi_tensor_apply_kernelINS1_32FusedOptimizerTensorListMetadataILi4EEENS1_20FusedAdamMathFunctorIfLi4ELNS0_9ADAM_MODEE0ELb0EEEJPKfdddddbS9_S9_EEEvT_T0_DpT1_.uses_vcc, 1
	.set _ZN2at6native12_GLOBAL__N_125multi_tensor_apply_kernelINS1_32FusedOptimizerTensorListMetadataILi4EEENS1_20FusedAdamMathFunctorIfLi4ELNS0_9ADAM_MODEE0ELb0EEEJPKfdddddbS9_S9_EEEvT_T0_DpT1_.uses_flat_scratch, 0
	.set _ZN2at6native12_GLOBAL__N_125multi_tensor_apply_kernelINS1_32FusedOptimizerTensorListMetadataILi4EEENS1_20FusedAdamMathFunctorIfLi4ELNS0_9ADAM_MODEE0ELb0EEEJPKfdddddbS9_S9_EEEvT_T0_DpT1_.has_dyn_sized_stack, 0
	.set _ZN2at6native12_GLOBAL__N_125multi_tensor_apply_kernelINS1_32FusedOptimizerTensorListMetadataILi4EEENS1_20FusedAdamMathFunctorIfLi4ELNS0_9ADAM_MODEE0ELb0EEEJPKfdddddbS9_S9_EEEvT_T0_DpT1_.has_recursion, 0
	.set _ZN2at6native12_GLOBAL__N_125multi_tensor_apply_kernelINS1_32FusedOptimizerTensorListMetadataILi4EEENS1_20FusedAdamMathFunctorIfLi4ELNS0_9ADAM_MODEE0ELb0EEEJPKfdddddbS9_S9_EEEvT_T0_DpT1_.has_indirect_call, 0
	.section	.AMDGPU.csdata,"",@progbits
; Kernel info:
; codeLenInByte = 10712
; TotalNumSgprs: 39
; NumVgprs: 60
; ScratchSize: 0
; MemoryBound: 0
; FloatMode: 240
; IeeeMode: 1
; LDSByteSize: 0 bytes/workgroup (compile time only)
; SGPRBlocks: 0
; VGPRBlocks: 7
; NumSGPRsForWavesPerEU: 39
; NumVGPRsForWavesPerEU: 60
; Occupancy: 16
; WaveLimiterHint : 0
; COMPUTE_PGM_RSRC2:SCRATCH_EN: 0
; COMPUTE_PGM_RSRC2:USER_SGPR: 2
; COMPUTE_PGM_RSRC2:TRAP_HANDLER: 0
; COMPUTE_PGM_RSRC2:TGID_X_EN: 1
; COMPUTE_PGM_RSRC2:TGID_Y_EN: 0
; COMPUTE_PGM_RSRC2:TGID_Z_EN: 0
; COMPUTE_PGM_RSRC2:TIDIG_COMP_CNT: 0
	.section	.text._ZN2at6native12_GLOBAL__N_125multi_tensor_apply_kernelINS1_32FusedOptimizerTensorListMetadataILi4EEENS1_20FusedAdamMathFunctorIN3c104HalfELi4ELNS0_9ADAM_MODEE0ELb0EEEJPKfdddddbSB_SB_EEEvT_T0_DpT1_,"axG",@progbits,_ZN2at6native12_GLOBAL__N_125multi_tensor_apply_kernelINS1_32FusedOptimizerTensorListMetadataILi4EEENS1_20FusedAdamMathFunctorIN3c104HalfELi4ELNS0_9ADAM_MODEE0ELb0EEEJPKfdddddbSB_SB_EEEvT_T0_DpT1_,comdat
	.globl	_ZN2at6native12_GLOBAL__N_125multi_tensor_apply_kernelINS1_32FusedOptimizerTensorListMetadataILi4EEENS1_20FusedAdamMathFunctorIN3c104HalfELi4ELNS0_9ADAM_MODEE0ELb0EEEJPKfdddddbSB_SB_EEEvT_T0_DpT1_ ; -- Begin function _ZN2at6native12_GLOBAL__N_125multi_tensor_apply_kernelINS1_32FusedOptimizerTensorListMetadataILi4EEENS1_20FusedAdamMathFunctorIN3c104HalfELi4ELNS0_9ADAM_MODEE0ELb0EEEJPKfdddddbSB_SB_EEEvT_T0_DpT1_
	.p2align	8
	.type	_ZN2at6native12_GLOBAL__N_125multi_tensor_apply_kernelINS1_32FusedOptimizerTensorListMetadataILi4EEENS1_20FusedAdamMathFunctorIN3c104HalfELi4ELNS0_9ADAM_MODEE0ELb0EEEJPKfdddddbSB_SB_EEEvT_T0_DpT1_,@function
_ZN2at6native12_GLOBAL__N_125multi_tensor_apply_kernelINS1_32FusedOptimizerTensorListMetadataILi4EEENS1_20FusedAdamMathFunctorIN3c104HalfELi4ELNS0_9ADAM_MODEE0ELb0EEEJPKfdddddbSB_SB_EEEvT_T0_DpT1_: ; @_ZN2at6native12_GLOBAL__N_125multi_tensor_apply_kernelINS1_32FusedOptimizerTensorListMetadataILi4EEENS1_20FusedAdamMathFunctorIN3c104HalfELi4ELNS0_9ADAM_MODEE0ELb0EEEJPKfdddddbSB_SB_EEEvT_T0_DpT1_
; %bb.0:
	v_mov_b32_e32 v1, ttmp9
	s_mov_b32 s3, 0
	global_load_u8 v1, v1, s[0:1] offset:1728
	s_clause 0x1
	s_load_b256 s[4:11], s[0:1], 0xd10
	s_load_b128 s[16:19], s[0:1], 0xd30
	s_wait_kmcnt 0x0
	s_cmp_eq_u64 s[4:5], 0
	s_wait_loadcnt 0x0
	v_readfirstlane_b32 s20, v1
	s_cbranch_scc1 .LBB3_20
; %bb.1:
	s_load_b32 s2, s[4:5], 0x0
	s_wait_kmcnt 0x0
	v_mov_b32_e32 v25, s2
	s_cbranch_execnz .LBB3_3
.LBB3_2:
	v_cvt_f32_f64_e32 v25, s[6:7]
.LBB3_3:
	s_load_b128 s[12:15], s[0:1], 0xd48
	s_wait_kmcnt 0x0
	s_cmp_eq_u64 s[14:15], 0
	s_cselect_b32 s2, -1, 0
	s_wait_alu 0xfffe
	s_and_b32 vcc_lo, exec_lo, s2
	s_cbranch_vccnz .LBB3_5
; %bb.4:
	s_load_b32 s2, s[14:15], 0x0
	s_wait_kmcnt 0x0
	s_cmp_neq_f32 s2, 1.0
	s_cselect_b32 s2, -1, 0
.LBB3_5:
	s_wait_alu 0xfffe
	s_and_not1_b32 vcc_lo, exec_lo, s2
	s_cbranch_vccnz .LBB3_84
; %bb.6:
	v_cvt_f32_f64_e32 v21, s[10:11]
	s_and_b32 s4, s20, 0xff
	v_cvt_f32_f64_e32 v22, s[8:9]
	s_lshl_b32 s10, s4, 3
	s_clause 0x2
	s_load_b64 s[6:7], s[0:1], s10 offset:0x5a0
	s_load_b32 s11, s[0:1], 0xd40
	s_load_b64 s[4:5], s[0:1], s10 offset:0x480
	s_mov_b32 s2, ttmp9
	v_cvt_f32_f64_e32 v23, s[16:17]
	v_cvt_f32_f64_e32 v24, s[18:19]
	s_wait_kmcnt 0x0
	s_load_b32 s14, s[6:7], 0x0
	s_delay_alu instid0(VALU_DEP_4)
	v_readfirstlane_b32 s6, v21
	s_cmp_neq_f32 s6, 1.0
	s_wait_kmcnt 0x0
	s_cselect_b32 s7, s14, 1.0
	s_wait_alu 0xfffe
	s_cmp_neq_f32 s7, 0
	s_cselect_b32 s6, s6, 1.0
	s_wait_alu 0xfffe
	v_frexp_mant_f32_e64 v1, |s6|
	s_delay_alu instid0(VALU_DEP_1) | instskip(SKIP_3) | instid1(SALU_CYCLE_1)
	v_readfirstlane_b32 s15, v1
	v_cvt_f64_f32_e64 v[1:2], |s6|
	s_cmp_lt_f32 s15, 0x3f2aaaab
	s_cselect_b32 s20, -1, 0
	s_and_b32 s21, s20, exec_lo
	s_cselect_b32 s21, 2.0, 1.0
	s_delay_alu instid0(SALU_CYCLE_1) | instskip(NEXT) | instid1(SALU_CYCLE_3)
	s_mul_f32 s15, s15, s21
	s_add_f32 s21, s15, 1.0
	s_add_f32 s23, s15, -1.0
	s_delay_alu instid0(SALU_CYCLE_2) | instskip(SKIP_1) | instid1(SALU_CYCLE_3)
	v_s_rcp_f32 s22, s21
	s_add_f32 s26, s21, -1.0
	s_sub_f32 s15, s15, s26
	s_delay_alu instid0(TRANS32_DEP_1) | instskip(NEXT) | instid1(SALU_CYCLE_3)
	s_mul_f32 s24, s23, s22
	s_mul_f32 s25, s21, s24
	s_delay_alu instid0(SALU_CYCLE_3) | instskip(NEXT) | instid1(VALU_DEP_1)
	s_xor_b32 s27, s25, 0x80000000
	v_frexp_exp_i32_f64_e32 v1, v[1:2]
	s_fmac_f32 s27, s24, s21
	s_delay_alu instid0(SALU_CYCLE_3) | instskip(NEXT) | instid1(SALU_CYCLE_3)
	s_fmac_f32 s27, s24, s15
	s_add_f32 s15, s25, s27
	s_delay_alu instid0(SALU_CYCLE_3) | instskip(SKIP_2) | instid1(SALU_CYCLE_1)
	s_sub_f32 s21, s23, s15
	s_sub_f32 s25, s15, s25
	s_wait_alu 0xfffe
	s_sub_f32 s23, s23, s21
	s_delay_alu instid0(SALU_CYCLE_1) | instskip(NEXT) | instid1(SALU_CYCLE_2)
	s_sub_f32 s25, s25, s27
	s_sub_f32 s15, s23, s15
	s_delay_alu instid0(SALU_CYCLE_3) | instskip(NEXT) | instid1(SALU_CYCLE_3)
	s_add_f32 s15, s25, s15
	s_add_f32 s15, s21, s15
	s_delay_alu instid0(SALU_CYCLE_3) | instskip(NEXT) | instid1(SALU_CYCLE_3)
	s_mul_f32 s15, s22, s15
	s_add_f32 s21, s24, s15
	s_wait_alu 0xfffe
	s_delay_alu instid0(SALU_CYCLE_2) | instskip(SKIP_1) | instid1(SALU_CYCLE_2)
	s_sub_f32 s22, s21, s24
	s_mul_f32 s23, s21, s21
	s_sub_f32 s22, s15, s22
	s_delay_alu instid0(SALU_CYCLE_2) | instskip(NEXT) | instid1(SALU_CYCLE_1)
	s_xor_b32 s24, s23, 0x80000000
	s_fmac_f32 s24, s21, s21
	s_delay_alu instid0(SALU_CYCLE_1) | instskip(NEXT) | instid1(SALU_CYCLE_3)
	s_add_f32 s15, s22, s22
	s_fmac_f32 s24, s21, s15
	s_mov_b32 s15, 0x3e76c4e1
	s_delay_alu instid0(SALU_CYCLE_2) | instskip(NEXT) | instid1(SALU_CYCLE_3)
	s_add_f32 s25, s23, s24
	s_fmaak_f32 s26, s25, s15, 0x3e91f4c4
	s_sub_f32 s23, s25, s23
	s_delay_alu instid0(SALU_CYCLE_2) | instskip(NEXT) | instid1(SALU_CYCLE_2)
	s_fmaak_f32 s26, s25, s26, 0x3ecccdef
	s_sub_f32 s23, s24, s23
	s_mul_f32 s24, s21, s25
	s_delay_alu instid0(SALU_CYCLE_1) | instskip(NEXT) | instid1(SALU_CYCLE_2)
	s_mul_f32 s27, s25, s26
	s_xor_b32 s29, s24, 0x80000000
	s_delay_alu instid0(SALU_CYCLE_2) | instskip(SKIP_2) | instid1(SALU_CYCLE_2)
	s_xor_b32 s28, s27, 0x80000000
	s_fmac_f32 s29, s25, s21
	s_fmac_f32 s28, s25, s26
	;; [unrolled: 1-line block ×3, first 2 shown]
	s_delay_alu instid0(SALU_CYCLE_2) | instskip(NEXT) | instid1(SALU_CYCLE_2)
	s_fmac_f32 s28, s23, s26
	s_fmac_f32 s29, s23, s21
	s_delay_alu instid0(SALU_CYCLE_2) | instskip(NEXT) | instid1(SALU_CYCLE_3)
	s_add_f32 s26, s27, s28
	s_sub_f32 s27, s26, s27
	s_add_f32 s30, s26, 0x3f2aaaaa
	s_delay_alu instid0(SALU_CYCLE_2) | instskip(NEXT) | instid1(SALU_CYCLE_2)
	s_sub_f32 s27, s28, s27
	s_add_f32 s28, s30, 0xbf2aaaaa
	s_delay_alu instid0(SALU_CYCLE_2) | instskip(NEXT) | instid1(SALU_CYCLE_2)
	s_add_f32 s25, s27, 0x31739010
	s_sub_f32 s26, s26, s28
	s_delay_alu instid0(SALU_CYCLE_3) | instskip(SKIP_1) | instid1(SALU_CYCLE_2)
	s_add_f32 s23, s25, s26
	s_add_f32 s25, s24, s29
	;; [unrolled: 1-line block ×3, first 2 shown]
	s_delay_alu instid0(SALU_CYCLE_2) | instskip(NEXT) | instid1(SALU_CYCLE_2)
	s_sub_f32 s24, s25, s24
	s_mul_f32 s27, s25, s26
	s_sub_f32 s28, s30, s26
	s_delay_alu instid0(SALU_CYCLE_1) | instskip(NEXT) | instid1(SALU_CYCLE_1)
	s_sub_f32 s24, s29, s24
	s_xor_b32 s30, s27, 0x80000000
	s_delay_alu instid0(SALU_CYCLE_1)
	s_add_f32 s23, s23, s28
	s_fmac_f32 s30, s25, s26
	v_readfirstlane_b32 s28, v1
	v_ldexp_f32 v1, s21, 1
	s_cmp_lg_u32 s20, 0
	s_fmac_f32 s30, s25, s23
	s_sub_co_ci_u32 s20, s28, 0
	s_delay_alu instid0(VALU_DEP_1) | instskip(NEXT) | instid1(SALU_CYCLE_1)
	v_readfirstlane_b32 s21, v1
	s_fmac_f32 s30, s24, s26
	s_wait_alu 0xfffe
	s_cvt_f32_i32 s20, s20
	v_ldexp_f32 v1, s22, 1
	s_add_f32 s23, s27, s30
	s_wait_alu 0xfffe
	s_mul_f32 s22, s20, 0x3f317218
	s_delay_alu instid0(VALU_DEP_1)
	v_readfirstlane_b32 s26, v1
	s_add_f32 s24, s21, s23
	s_sub_f32 s25, s23, s27
	s_wait_alu 0xfffe
	s_xor_b32 s27, s22, 0x80000000
	s_sub_f32 s21, s24, s21
	s_sub_f32 s25, s30, s25
	s_fmamk_f32 s27, s20, 0x3f317218, s27
	s_wait_alu 0xfffe
	s_sub_f32 s21, s23, s21
	s_add_f32 s23, s26, s25
	s_fmamk_f32 s20, s20, 0xb102e308, s27
	s_wait_alu 0xfffe
	s_delay_alu instid0(SALU_CYCLE_1) | instskip(NEXT) | instid1(SALU_CYCLE_1)
	s_add_f32 s21, s23, s21
	s_add_f32 s23, s22, s20
	s_wait_alu 0xfffe
	s_delay_alu instid0(SALU_CYCLE_1) | instskip(NEXT) | instid1(SALU_CYCLE_1)
	s_add_f32 s25, s24, s21
	s_sub_f32 s22, s23, s22
	s_delay_alu instid0(SALU_CYCLE_2)
	s_add_f32 s26, s23, s25
	s_sub_f32 s24, s25, s24
	s_wait_alu 0xfffe
	s_sub_f32 s20, s20, s22
	s_sub_f32 s27, s26, s23
	;; [unrolled: 1-line block ×3, first 2 shown]
	s_delay_alu instid0(SALU_CYCLE_2)
	s_sub_f32 s28, s26, s27
	s_sub_f32 s22, s25, s27
	s_wait_alu 0xfffe
	s_add_f32 s24, s20, s21
	s_sub_f32 s23, s23, s28
	s_wait_alu 0xfffe
	s_delay_alu instid0(SALU_CYCLE_2) | instskip(SKIP_2) | instid1(SALU_CYCLE_1)
	s_add_f32 s22, s22, s23
	s_sub_f32 s23, s24, s20
	s_wait_alu 0xfffe
	s_add_f32 s22, s24, s22
	s_delay_alu instid0(SALU_CYCLE_1) | instskip(SKIP_4) | instid1(SALU_CYCLE_2)
	s_sub_f32 s24, s24, s23
	s_sub_f32 s21, s21, s23
	s_wait_alu 0xfffe
	s_add_f32 s25, s26, s22
	s_sub_f32 s20, s20, s24
	s_sub_f32 s23, s25, s26
	s_wait_alu 0xfffe
	s_delay_alu instid0(SALU_CYCLE_1) | instskip(NEXT) | instid1(SALU_CYCLE_1)
	s_add_f32 s20, s21, s20
	s_sub_f32 s21, s22, s23
	s_wait_alu 0xfffe
	s_delay_alu instid0(SALU_CYCLE_2) | instskip(SKIP_1) | instid1(SALU_CYCLE_2)
	s_add_f32 s20, s20, s21
	s_wait_alu 0xfffe
	s_add_f32 s21, s25, s20
	s_wait_alu 0xfffe
	s_delay_alu instid0(SALU_CYCLE_2) | instskip(SKIP_2) | instid1(SALU_CYCLE_1)
	s_mul_f32 s22, s7, s21
	s_sub_f32 s23, s21, s25
	s_wait_alu 0xfffe
	s_xor_b32 s24, s22, 0x80000000
	s_delay_alu instid0(SALU_CYCLE_1) | instskip(SKIP_2) | instid1(SALU_CYCLE_2)
	s_sub_f32 s20, s20, s23
	s_fmac_f32 s24, s7, s21
	s_wait_alu 0xfffe
	s_fmac_f32 s24, s7, s20
	v_cmp_class_f32_e64 s20, s22, 0x204
	s_delay_alu instid0(SALU_CYCLE_2) | instskip(SKIP_2) | instid1(SALU_CYCLE_1)
	s_add_f32 s21, s22, s24
	s_and_b32 s20, s20, exec_lo
	s_wait_alu 0xfffe
	s_sub_f32 s20, s21, s22
	s_cselect_b32 s21, s22, s21
	s_wait_alu 0xfffe
	s_and_b32 s22, s21, 0x7fffffff
	s_sub_f32 s20, s24, s20
	s_wait_alu 0xfffe
	s_cmp_neq_f32 s22, 0x7f800000
	s_delay_alu instid0(SALU_CYCLE_1)
	s_cselect_b32 s20, s20, 0
	s_cmp_eq_f32 s21, 0x42b17218
	s_cselect_b32 s22, 0x37000000, 0
	s_wait_alu 0xfffe
	s_sub_f32 s21, s21, s22
	s_add_f32 s20, s22, s20
	s_wait_alu 0xfffe
	s_delay_alu instid0(SALU_CYCLE_1) | instskip(SKIP_1) | instid1(SALU_CYCLE_2)
	s_mul_f32 s23, s21, 0x3fb8aa3b
	s_wait_alu 0xfffe
	s_xor_b32 s24, s23, 0x80000000
	s_rndne_f32 s25, s23
	s_fmamk_f32 s24, s21, 0x3fb8aa3b, s24
	s_cmp_nlt_f32 s21, 0xc2ce8ed0
	s_delay_alu instid0(SALU_CYCLE_1) | instskip(NEXT) | instid1(SALU_CYCLE_1)
	s_sub_f32 s23, s23, s25
	s_fmamk_f32 s24, s21, 0x32a5705f, s24
	s_cselect_b32 vcc_lo, -1, 0
	s_cmp_ngt_f32 s21, 0x42b17218
	s_trunc_f32 s21, s7
	s_wait_alu 0xfffe
	s_add_f32 s23, s23, s24
	s_cvt_i32_f32 s24, s25
	s_wait_alu 0xfffe
	s_delay_alu instid0(SALU_CYCLE_1) | instskip(SKIP_1) | instid1(TRANS32_DEP_1)
	v_s_exp_f32 s23, s23
	s_wait_alu 0xf1ff
	v_ldexp_f32 v1, s23, s24
	s_mul_f32 s23, s7, 0.5
	s_delay_alu instid0(VALU_DEP_1)
	v_cndmask_b32_e32 v1, 0, v1, vcc_lo
	s_cselect_b32 vcc_lo, -1, 0
	s_cmp_eq_f32 s21, s7
	s_wait_alu 0xfffe
	s_trunc_f32 s24, s23
	v_cndmask_b32_e32 v1, 0x7f800000, v1, vcc_lo
	s_cselect_b32 s22, -1, 0
	s_wait_alu 0xfffe
	s_cmp_neq_f32 s24, s23
	s_delay_alu instid0(VALU_DEP_1)
	v_fma_f32 v2, s20, v1, v1
	v_cmp_class_f32_e64 vcc_lo, v1, 0x204
	s_cselect_b32 s20, -1, 0
	s_wait_alu 0xfffe
	s_and_b32 s20, s22, s20
	s_wait_alu 0xfffd
	v_cndmask_b32_e32 v1, v2, v1, vcc_lo
	s_wait_alu 0xfffe
	s_and_b32 s22, s20, exec_lo
	s_cselect_b32 s22, s6, 1.0
	s_cmp_eq_f32 s21, s7
	s_wait_alu 0xfffe
	v_bfi_b32 v1, 0x7fffffff, v1, s22
	s_cselect_b32 s22, -1, 0
	s_wait_alu 0xfffe
	s_and_b32 s22, s22, exec_lo
	s_delay_alu instid0(VALU_DEP_1)
	v_readfirstlane_b32 s21, v1
	s_cselect_b32 s22, s21, 0x7fc00000
	s_and_b32 s23, s6, 0x7fffffff
	s_cmp_lt_f32 s6, 0
	s_wait_alu 0xfffe
	s_cselect_b32 s21, s22, s21
	s_and_b32 s22, s7, 0x7fffffff
	s_wait_alu 0xfffe
	s_cmp_neq_f32 s7, s22
	s_cselect_b32 s22, -1, 0
	s_cmp_lt_f32 s23, 1.0
	s_cselect_b32 s24, -1, 0
	s_wait_alu 0xfffe
	s_xor_b32 s22, s22, s24
	v_cmp_class_f32_e64 s24, s7, 0x204
	s_wait_alu 0xfffe
	s_and_b32 s22, s22, exec_lo
	s_cselect_b32 s22, 0, 0x7f800000
	s_cmp_neq_f32 s23, 1.0
	s_wait_alu 0xfffe
	s_cselect_b32 s22, s22, 1.0
	s_and_b32 s23, s24, exec_lo
	s_wait_alu 0xfffe
	s_cselect_b32 s21, s22, s21
	s_cmp_eq_f32 s6, 0
	v_cmp_class_f32_e64 s22, s6, 0x204
	s_cselect_b32 s23, -1, 0
	s_wait_alu 0xfffe
	s_or_b32 s22, s23, s22
	s_cmp_lt_f32 s7, 0
	s_cselect_b32 s24, -1, 0
	s_wait_alu 0xfffe
	s_xor_b32 s23, s24, s23
	s_wait_alu 0xfffe
	s_and_b32 s23, s23, exec_lo
	s_cselect_b32 s23, 0, 0x7f800000
	s_and_b32 s20, s20, exec_lo
	s_cselect_b32 s20, s6, 0
	s_and_b32 s22, s22, exec_lo
	s_wait_alu 0xfffe
	v_mov_b32_e32 v1, s20
	s_delay_alu instid0(VALU_DEP_1) | instskip(NEXT) | instid1(VALU_DEP_1)
	v_bfi_b32 v1, 0x7fffffff, s23, v1
	v_readfirstlane_b32 s20, v1
	s_cselect_b32 s20, s20, s21
	s_cmp_o_f32 s6, s7
	s_wait_alu 0xfffe
	s_sub_f32 s6, 1.0, s20
	s_wait_alu 0xfffe
	s_delay_alu instid0(SALU_CYCLE_2) | instskip(SKIP_4) | instid1(SALU_CYCLE_1)
	s_cselect_b32 s7, s6, 0x7fc00000
	s_wait_alu 0xfffe
	s_mul_f32 s6, s7, 0x4f800000
	s_cmp_lt_f32 s7, 0xf800000
	s_wait_alu 0xfffe
	s_cselect_b32 s6, s6, s7
	s_wait_alu 0xfffe
	v_s_sqrt_f32 s8, s6
	s_mov_b32 s20, s6
	s_delay_alu instid0(TRANS32_DEP_1)
	s_add_co_i32 s9, s8, -1
	s_wait_alu 0xfffe
	s_xor_b32 s21, s9, 0x80000000
	s_wait_alu 0xfffe
	s_fmac_f32 s20, s21, s8
	s_mov_b32 s21, s6
	s_wait_alu 0xfffe
	s_delay_alu instid0(SALU_CYCLE_1)
	s_cmp_le_f32 s20, 0
	s_cselect_b32 s9, s9, s8
	s_add_co_i32 s20, s8, 1
	s_wait_alu 0xfffe
	s_xor_b32 s22, s20, 0x80000000
	s_wait_alu 0xfffe
	s_fmac_f32 s21, s22, s8
	s_wait_alu 0xfffe
	s_delay_alu instid0(SALU_CYCLE_2)
	s_cmp_gt_f32 s21, 0
	v_readfirstlane_b32 s21, v22
	s_cselect_b32 s8, s20, s9
	s_cmp_lt_f32 s7, 0xf800000
	s_wait_alu 0xfffe
	s_mul_f32 s7, s8, 0x37800000
	s_wait_alu 0xfffe
	s_delay_alu instid0(SALU_CYCLE_2)
	s_cselect_b32 s7, s7, s8
	s_cmp_neq_f32 s21, 1.0
	s_cselect_b32 s8, s14, 1.0
	s_wait_alu 0xfffe
	s_cmp_neq_f32 s8, 0
	s_cselect_b32 s9, s21, 1.0
	s_wait_alu 0xfffe
	v_frexp_mant_f32_e64 v1, |s9|
	s_delay_alu instid0(VALU_DEP_1)
	v_readfirstlane_b32 s14, v1
	v_cvt_f64_f32_e64 v[1:2], |s9|
	s_cmp_lt_f32 s14, 0x3f2aaaab
	s_cselect_b32 s20, -1, 0
	s_wait_alu 0xfffe
	s_and_b32 s21, s20, exec_lo
	s_cselect_b32 s21, 2.0, 1.0
	s_wait_alu 0xfffe
	s_mul_f32 s14, s14, s21
	s_delay_alu instid0(SALU_CYCLE_3) | instskip(SKIP_2) | instid1(SALU_CYCLE_1)
	s_add_f32 s21, s14, 1.0
	s_add_f32 s23, s14, -1.0
	s_wait_alu 0xfffe
	v_s_rcp_f32 s22, s21
	s_add_f32 s26, s21, -1.0
	s_delay_alu instid0(SALU_CYCLE_3) | instskip(NEXT) | instid1(TRANS32_DEP_1)
	s_sub_f32 s14, s14, s26
	s_mul_f32 s24, s23, s22
	s_wait_alu 0xfffe
	s_delay_alu instid0(SALU_CYCLE_2) | instskip(SKIP_1) | instid1(SALU_CYCLE_2)
	s_mul_f32 s25, s21, s24
	s_wait_alu 0xfffe
	s_xor_b32 s27, s25, 0x80000000
	s_delay_alu instid0(SALU_CYCLE_1) | instskip(NEXT) | instid1(VALU_DEP_1)
	s_fmac_f32 s27, s24, s21
	v_frexp_exp_i32_f64_e32 v1, v[1:2]
	s_delay_alu instid0(SALU_CYCLE_2) | instskip(NEXT) | instid1(SALU_CYCLE_3)
	s_fmac_f32 s27, s24, s14
	s_add_f32 s14, s25, s27
	s_delay_alu instid0(SALU_CYCLE_3) | instskip(SKIP_2) | instid1(SALU_CYCLE_1)
	s_sub_f32 s21, s23, s14
	s_sub_f32 s25, s14, s25
	s_wait_alu 0xfffe
	s_sub_f32 s23, s23, s21
	s_delay_alu instid0(SALU_CYCLE_1) | instskip(SKIP_1) | instid1(SALU_CYCLE_1)
	s_sub_f32 s25, s25, s27
	s_wait_alu 0xfffe
	s_sub_f32 s14, s23, s14
	s_delay_alu instid0(SALU_CYCLE_3) | instskip(NEXT) | instid1(SALU_CYCLE_3)
	s_add_f32 s14, s25, s14
	s_add_f32 s14, s21, s14
	s_delay_alu instid0(SALU_CYCLE_3) | instskip(NEXT) | instid1(SALU_CYCLE_3)
	s_mul_f32 s14, s22, s14
	s_add_f32 s21, s24, s14
	s_wait_alu 0xfffe
	s_delay_alu instid0(SALU_CYCLE_2) | instskip(SKIP_2) | instid1(SALU_CYCLE_1)
	s_sub_f32 s22, s21, s24
	s_mul_f32 s23, s21, s21
	s_wait_alu 0xfffe
	s_sub_f32 s14, s14, s22
	s_delay_alu instid0(SALU_CYCLE_1) | instskip(SKIP_4) | instid1(SALU_CYCLE_2)
	s_xor_b32 s22, s23, 0x80000000
	s_wait_alu 0xfffe
	s_fmac_f32 s22, s21, s21
	s_add_f32 s24, s14, s14
	s_wait_alu 0xfffe
	s_fmac_f32 s22, s21, s24
	s_wait_alu 0xfffe
	s_delay_alu instid0(SALU_CYCLE_2) | instskip(SKIP_1) | instid1(SALU_CYCLE_2)
	s_add_f32 s24, s23, s22
	s_wait_alu 0xfffe
	s_fmaak_f32 s15, s24, s15, 0x3e91f4c4
	s_sub_f32 s23, s24, s23
	s_delay_alu instid0(SALU_CYCLE_2) | instskip(SKIP_1) | instid1(SALU_CYCLE_1)
	s_fmaak_f32 s15, s24, s15, 0x3ecccdef
	s_wait_alu 0xfffe
	s_sub_f32 s22, s22, s23
	s_delay_alu instid0(SALU_CYCLE_1) | instskip(SKIP_1) | instid1(SALU_CYCLE_2)
	s_mul_f32 s25, s24, s15
	s_wait_alu 0xfffe
	s_xor_b32 s26, s25, 0x80000000
	s_delay_alu instid0(SALU_CYCLE_1) | instskip(NEXT) | instid1(SALU_CYCLE_3)
	s_fmac_f32 s26, s24, s15
	s_fmac_f32 s26, s22, s15
	s_mul_f32 s15, s21, s24
	s_delay_alu instid0(SALU_CYCLE_2) | instskip(NEXT) | instid1(SALU_CYCLE_2)
	s_add_f32 s23, s25, s26
	s_xor_b32 s27, s15, 0x80000000
	s_delay_alu instid0(SALU_CYCLE_1)
	s_fmac_f32 s27, s24, s21
	s_wait_alu 0xfffe
	s_sub_f32 s25, s23, s25
	s_add_f32 s28, s23, 0x3f2aaaaa
	s_fmac_f32 s27, s24, s14
	s_wait_alu 0xfffe
	s_sub_f32 s25, s26, s25
	s_add_f32 s26, s28, 0xbf2aaaaa
	s_fmac_f32 s27, s22, s21
	s_wait_alu 0xfffe
	s_add_f32 s24, s25, 0x31739010
	s_sub_f32 s23, s23, s26
	s_wait_alu 0xfffe
	s_delay_alu instid0(SALU_CYCLE_2) | instskip(SKIP_2) | instid1(SALU_CYCLE_1)
	s_add_f32 s22, s24, s23
	s_add_f32 s23, s15, s27
	s_wait_alu 0xfffe
	s_add_f32 s24, s28, s22
	s_delay_alu instid0(SALU_CYCLE_1) | instskip(SKIP_1) | instid1(SALU_CYCLE_1)
	s_sub_f32 s15, s23, s15
	s_wait_alu 0xfffe
	s_mul_f32 s25, s23, s24
	s_sub_f32 s26, s28, s24
	s_sub_f32 s15, s27, s15
	s_wait_alu 0xfffe
	s_xor_b32 s28, s25, 0x80000000
	s_add_f32 s22, s22, s26
	s_fmac_f32 s28, s23, s24
	v_readfirstlane_b32 s26, v1
	v_ldexp_f32 v1, s21, 1
	s_cmp_lg_u32 s20, 0
	s_wait_alu 0xfffe
	s_fmac_f32 s28, s23, s22
	s_delay_alu instid0(VALU_DEP_1) | instskip(NEXT) | instid1(SALU_CYCLE_2)
	v_readfirstlane_b32 s20, v1
	s_fmac_f32 s28, s15, s24
	s_sub_co_ci_u32 s15, s26, 0
	v_ldexp_f32 v1, s14, 1
	s_cvt_f32_i32 s15, s15
	s_add_f32 s21, s25, s28
	s_wait_alu 0xfffe
	s_delay_alu instid0(SALU_CYCLE_1) | instskip(NEXT) | instid1(SALU_CYCLE_1)
	s_mul_f32 s14, s15, 0x3f317218
	s_add_f32 s22, s20, s21
	s_sub_f32 s23, s21, s25
	v_readfirstlane_b32 s24, v1
	s_wait_alu 0xfffe
	s_xor_b32 s25, s14, 0x80000000
	s_sub_f32 s20, s22, s20
	s_sub_f32 s23, s28, s23
	s_wait_alu 0xfffe
	s_fmamk_f32 s25, s15, 0x3f317218, s25
	s_sub_f32 s20, s21, s20
	s_add_f32 s21, s24, s23
	s_wait_alu 0xfffe
	s_fmamk_f32 s15, s15, 0xb102e308, s25
	s_delay_alu instid0(SALU_CYCLE_1) | instskip(SKIP_1) | instid1(SALU_CYCLE_1)
	s_add_f32 s20, s21, s20
	s_wait_alu 0xfffe
	s_add_f32 s21, s14, s15
	s_delay_alu instid0(SALU_CYCLE_1) | instskip(SKIP_1) | instid1(SALU_CYCLE_1)
	s_add_f32 s23, s22, s20
	s_wait_alu 0xfffe
	s_sub_f32 s14, s21, s14
	s_delay_alu instid0(SALU_CYCLE_1)
	s_add_f32 s24, s21, s23
	s_sub_f32 s22, s23, s22
	s_wait_alu 0xfffe
	s_sub_f32 s14, s15, s14
	s_sub_f32 s25, s24, s21
	;; [unrolled: 1-line block ×3, first 2 shown]
	s_wait_alu 0xfffe
	s_delay_alu instid0(SALU_CYCLE_1) | instskip(SKIP_2) | instid1(SALU_CYCLE_1)
	s_sub_f32 s26, s24, s25
	s_sub_f32 s20, s23, s25
	s_add_f32 s22, s14, s15
	s_sub_f32 s21, s21, s26
	s_wait_alu 0xfffe
	s_delay_alu instid0(SALU_CYCLE_2) | instskip(SKIP_2) | instid1(SALU_CYCLE_1)
	s_add_f32 s20, s20, s21
	s_sub_f32 s21, s22, s14
	s_wait_alu 0xfffe
	s_add_f32 s20, s22, s20
	s_delay_alu instid0(SALU_CYCLE_1)
	s_sub_f32 s22, s22, s21
	s_sub_f32 s15, s15, s21
	s_wait_alu 0xfffe
	s_add_f32 s23, s24, s20
	s_sub_f32 s14, s14, s22
	s_wait_alu 0xfffe
	s_delay_alu instid0(SALU_CYCLE_1) | instskip(NEXT) | instid1(SALU_CYCLE_1)
	s_sub_f32 s21, s23, s24
	s_add_f32 s14, s15, s14
	s_wait_alu 0xfffe
	s_delay_alu instid0(SALU_CYCLE_1) | instskip(SKIP_1) | instid1(SALU_CYCLE_2)
	s_sub_f32 s15, s20, s21
	s_wait_alu 0xfffe
	s_add_f32 s14, s14, s15
	s_wait_alu 0xfffe
	s_delay_alu instid0(SALU_CYCLE_2) | instskip(SKIP_1) | instid1(SALU_CYCLE_2)
	s_add_f32 s15, s23, s14
	s_wait_alu 0xfffe
	s_mul_f32 s20, s8, s15
	s_sub_f32 s21, s15, s23
	s_wait_alu 0xfffe
	s_delay_alu instid0(SALU_CYCLE_1) | instskip(NEXT) | instid1(SALU_CYCLE_1)
	s_xor_b32 s22, s20, 0x80000000
	s_sub_f32 s14, s14, s21
	s_wait_alu 0xfffe
	s_fmac_f32 s22, s8, s15
	s_wait_alu 0xfffe
	s_delay_alu instid0(SALU_CYCLE_2) | instskip(SKIP_2) | instid1(SALU_CYCLE_1)
	s_fmac_f32 s22, s8, s14
	v_cmp_class_f32_e64 s14, s20, 0x204
	s_wait_alu 0xfffe
	s_add_f32 s15, s20, s22
	s_and_b32 s14, s14, exec_lo
	s_wait_alu 0xfffe
	s_delay_alu instid0(SALU_CYCLE_1)
	s_sub_f32 s14, s15, s20
	s_cselect_b32 s15, s20, s15
	s_wait_alu 0xfffe
	s_and_b32 s20, s15, 0x7fffffff
	s_sub_f32 s14, s22, s14
	s_wait_alu 0xfffe
	s_cmp_neq_f32 s20, 0x7f800000
	s_delay_alu instid0(SALU_CYCLE_1)
	s_cselect_b32 s14, s14, 0
	s_cmp_eq_f32 s15, 0x42b17218
	s_cselect_b32 s20, 0x37000000, 0
	s_wait_alu 0xfffe
	s_sub_f32 s15, s15, s20
	s_add_f32 s14, s20, s14
	s_wait_alu 0xfffe
	s_delay_alu instid0(SALU_CYCLE_1) | instskip(SKIP_1) | instid1(SALU_CYCLE_2)
	s_mul_f32 s21, s15, 0x3fb8aa3b
	s_wait_alu 0xfffe
	s_xor_b32 s22, s21, 0x80000000
	s_rndne_f32 s23, s21
	s_wait_alu 0xfffe
	s_fmamk_f32 s22, s15, 0x3fb8aa3b, s22
	s_cmp_nlt_f32 s15, 0xc2ce8ed0
	s_sub_f32 s21, s21, s23
	s_wait_alu 0xfffe
	s_fmamk_f32 s22, s15, 0x32a5705f, s22
	s_cselect_b32 vcc_lo, -1, 0
	s_cmp_ngt_f32 s15, 0x42b17218
	s_trunc_f32 s15, s8
	s_wait_alu 0xfffe
	s_add_f32 s21, s21, s22
	s_cvt_i32_f32 s22, s23
	s_wait_alu 0xfffe
	s_delay_alu instid0(SALU_CYCLE_1) | instskip(SKIP_1) | instid1(TRANS32_DEP_1)
	v_s_exp_f32 s21, s21
	s_wait_alu 0xf1ff
	v_ldexp_f32 v1, s21, s22
	s_mul_f32 s21, s8, 0.5
	s_delay_alu instid0(VALU_DEP_1)
	v_cndmask_b32_e32 v1, 0, v1, vcc_lo
	s_cselect_b32 vcc_lo, -1, 0
	s_cmp_eq_f32 s15, s8
	s_wait_alu 0xfffe
	s_trunc_f32 s22, s21
	v_cndmask_b32_e32 v1, 0x7f800000, v1, vcc_lo
	s_cselect_b32 s23, -1, 0
	s_wait_alu 0xfffe
	s_cmp_neq_f32 s22, s21
	s_delay_alu instid0(VALU_DEP_1)
	v_fma_f32 v2, s14, v1, v1
	s_cselect_b32 s20, -1, 0
	v_cmp_class_f32_e64 vcc_lo, v1, 0x204
	s_wait_alu 0xfffe
	s_and_b32 s20, s23, s20
	s_wait_alu 0xfffe
	s_and_b32 s14, s20, exec_lo
	s_cselect_b32 s14, s9, 1.0
	s_cmp_eq_f32 s15, s8
	s_wait_alu 0xfffd
	v_cndmask_b32_e32 v1, v2, v1, vcc_lo
	s_cselect_b32 vcc_lo, -1, 0
	s_bitcmp1_b32 s11, 0
	s_wait_alu 0xfffe
	s_delay_alu instid0(VALU_DEP_1) | instskip(SKIP_3) | instid1(VALU_DEP_1)
	v_bfi_b32 v1, 0x7fffffff, v1, s14
	s_cselect_b32 s33, -1, 0
	s_and_b32 s11, s9, 0x7fffffff
	s_cmp_lt_f32 s9, 0
	v_cndmask_b32_e32 v2, 0x7fc00000, v1, vcc_lo
	s_cselect_b32 vcc_lo, -1, 0
	s_and_b32 s14, s8, 0x7fffffff
	s_wait_alu 0xfffe
	s_cmp_neq_f32 s8, s14
	v_cndmask_b32_e32 v1, v1, v2, vcc_lo
	s_cselect_b32 s14, -1, 0
	s_cmp_lt_f32 s11, 1.0
	s_cselect_b32 s15, -1, 0
	s_wait_alu 0xfffe
	s_xor_b32 s14, s14, s15
	v_cmp_class_f32_e64 s15, s8, 0x204
	s_wait_alu 0xfffe
	s_and_b32 s14, s14, exec_lo
	s_cselect_b32 s14, 0, 0x7f800000
	s_cmp_neq_f32 s11, 1.0
	s_wait_alu 0xfffe
	s_cselect_b32 s11, s14, 1.0
	s_cmp_eq_f32 s9, 0
	v_cmp_class_f32_e64 s14, s9, 0x204
	s_wait_alu 0xfffe
	v_cndmask_b32_e64 v1, v1, s11, s15
	s_cselect_b32 s21, -1, 0
	s_wait_alu 0xfffe
	s_or_b32 vcc_lo, s21, s14
	s_cmp_lt_f32 s8, 0
	s_mul_u64 s[14:15], s[2:3], 3
	s_add_nc_u64 s[2:3], s[0:1], s[2:3]
	s_wait_alu 0xfffe
	s_add_nc_u64 s[2:3], s[2:3], s[14:15]
	s_cselect_b32 s11, -1, 0
	s_load_b32 s2, s[2:3], 0x800
	s_xor_b32 s11, s11, s21
	v_cmp_class_f32_e64 s3, s6, 0x260
	s_wait_alu 0xfffe
	s_and_b32 s11, s11, exec_lo
	s_cselect_b32 s11, 0, 0x7f800000
	s_and_b32 s14, s20, exec_lo
	s_clause 0x2
	s_load_b64 s[20:21], s[0:1], s10 offset:0x0
	s_load_b64 s[22:23], s[0:1], s10 offset:0x120
	;; [unrolled: 1-line block ×3, first 2 shown]
	s_cselect_b32 s14, s9, 0
	s_load_b64 s[26:27], s[0:1], s10 offset:0x360
	v_mov_b32_e32 v2, s14
	s_cmp_o_f32 s9, s8
	s_delay_alu instid0(VALU_DEP_1) | instskip(SKIP_3) | instid1(VALU_DEP_1)
	v_bfi_b32 v2, 0x7fffffff, s11, v2
	s_mov_b32 s11, 0
	s_wait_alu 0xfffe
	s_mov_b32 s19, s11
	v_cndmask_b32_e32 v1, v1, v2, vcc_lo
	s_cselect_b32 vcc_lo, -1, 0
	s_and_b32 s3, s3, exec_lo
	s_cselect_b32 s34, s6, s7
	s_wait_kmcnt 0x0
	s_ashr_i32 s3, s2, 31
	v_sub_f32_e32 v1, 1.0, v1
	s_wait_alu 0xfffe
	s_lshl_b64 s[6:7], s[2:3], 17
	s_lshl_b64 s[28:29], s[2:3], 16
	s_wait_alu 0xfffe
	s_add_nc_u64 s[14:15], s[22:23], s[6:7]
	s_add_nc_u64 s[8:9], s[20:21], s[6:7]
	s_wait_alu 0xfffe
	s_and_b32 s18, s14, 7
	s_and_b32 s10, s8, 7
	s_add_nc_u64 s[16:17], s[24:25], s[6:7]
	s_wait_alu 0xfffe
	s_cmp_lg_u64 s[18:19], 0
	s_add_nc_u64 s[18:19], s[26:27], s[6:7]
	s_cselect_b32 s30, -1, 0
	s_wait_alu 0xfffe
	s_or_b32 s2, s18, s16
	s_mov_b32 s3, s11
	s_wait_alu 0xfffe
	s_and_b32 s2, s2, 7
	v_cndmask_b32_e32 v26, 0x7fc00000, v1, vcc_lo
	s_wait_alu 0xfffe
	s_cmp_lg_u32 s2, 0
	s_cselect_b32 s31, -1, 0
	s_and_b32 s2, s4, 3
	s_wait_alu 0xfffe
	s_or_b64 s[2:3], s[10:11], s[2:3]
	s_or_b32 s10, s31, s30
	s_wait_alu 0xfffe
	s_cmp_lg_u64 s[2:3], 0
	s_cselect_b32 s2, -1, 0
	s_wait_alu 0xfffe
	s_or_b32 s3, s10, s2
	s_mov_b32 s2, -1
	s_wait_alu 0xfffe
	s_and_not1_b32 vcc_lo, exec_lo, s3
	s_sub_nc_u64 s[10:11], s[4:5], s[28:29]
	s_wait_alu 0xfffe
	s_cbranch_vccz .LBB3_22
; %bb.7:
	v_cmp_gt_i64_e64 s2, 0x10000, s[10:11]
	v_dual_mov_b32 v2, 0 :: v_dual_lshlrev_b32 v1, 2, v0
	s_mov_b32 s35, exec_lo
	s_and_b32 s2, s2, exec_lo
	s_cselect_b32 s29, s11, 0
	s_cselect_b32 s28, s10, 0x10000
	s_delay_alu instid0(SALU_CYCLE_1)
	v_cmpx_gt_i64_e64 s[28:29], v[1:2]
	s_cbranch_execz .LBB3_21
; %bb.8:
	v_div_scale_f32 v1, null, v26, v26, v25
	v_div_scale_f32 v5, vcc_lo, v25, v26, v25
	s_load_b32 s3, s[0:1], 0xd64
	v_rcp_f32_e32 v3, v1
	v_xor_b32_e32 v4, 0x80000000, v1
	s_cmp_lg_u64 s[12:13], 0
	v_cmp_neq_f32_e64 s2, 0, v23
	s_cselect_b32 s36, -1, 0
	s_mov_b32 s31, 0
	v_lshlrev_b32_e32 v27, 3, v0
	s_mov_b32 s38, s31
	s_delay_alu instid0(TRANS32_DEP_1) | instskip(NEXT) | instid1(VALU_DEP_1)
	v_fma_f32 v1, v4, v3, 1.0
	v_fmac_f32_e32 v3, v1, v3
	s_wait_kmcnt 0x0
	s_and_b32 s37, s3, 0xffff
	s_delay_alu instid0(VALU_DEP_1) | instskip(SKIP_1) | instid1(VALU_DEP_1)
	v_mul_f32_e32 v6, v5, v3
	s_lshl_b32 s30, s37, 3
	v_fma_f32 v1, v4, v6, v5
	s_delay_alu instid0(VALU_DEP_1) | instskip(NEXT) | instid1(VALU_DEP_1)
	v_dual_fmac_f32 v6, v1, v3 :: v_dual_mov_b32 v1, v2
	v_fmac_f32_e32 v5, v4, v6
	s_delay_alu instid0(VALU_DEP_1) | instskip(NEXT) | instid1(VALU_DEP_1)
	v_div_fmas_f32 v3, v5, v3, v6
	v_div_fixup_f32 v28, v3, v26, v25
	s_delay_alu instid0(VALU_DEP_4)
	v_dual_mov_b32 v4, v1 :: v_dual_mov_b32 v3, v0
	s_branch .LBB3_10
.LBB3_9:                                ;   in Loop: Header=BB3_10 Depth=1
	v_add_co_u32 v3, vcc_lo, v3, s37
	v_cvt_f16_f32_e32 v1, v16
	v_cvt_f16_f32_e32 v9, v32
	;; [unrolled: 1-line block ×4, first 2 shown]
	s_wait_alu 0xfffd
	v_add_co_ci_u32_e64 v4, null, 0, v4, vcc_lo
	v_pack_b32_f16 v10, v9, v1
	v_cvt_f16_f32_e32 v13, v18
	v_pack_b32_f16 v9, v12, v11
	s_delay_alu instid0(VALU_DEP_4)
	v_lshlrev_b64_e32 v[11:12], 2, v[3:4]
	v_cvt_f16_f32_e32 v1, v20
	v_cvt_f16_f32_e32 v14, v31
	;; [unrolled: 1-line block ×3, first 2 shown]
	global_store_b64 v[7:8], v[9:10], off
	s_add_nc_u64 s[18:19], s[18:19], s[30:31]
	v_cmp_le_i64_e32 vcc_lo, s[28:29], v[11:12]
	v_pack_b32_f16 v8, v1, v13
	v_pack_b32_f16 v7, v15, v14
	s_add_nc_u64 s[8:9], s[8:9], s[30:31]
	s_add_nc_u64 s[16:17], s[16:17], s[30:31]
	s_add_nc_u64 s[14:15], s[14:15], s[30:31]
	s_or_b32 s38, vcc_lo, s38
	global_store_b64 v[5:6], v[7:8], off
	s_and_not1_b32 exec_lo, exec_lo, s38
	s_cbranch_execz .LBB3_21
.LBB3_10:                               ; =>This Inner Loop Header: Depth=1
	s_wait_alu 0xfffe
	v_add_co_u32 v9, s3, s14, v27
	s_wait_alu 0xf1ff
	v_add_co_ci_u32_e64 v10, null, s15, 0, s3
	v_add_co_u32 v11, s3, s8, v27
	s_wait_alu 0xf1ff
	v_add_co_ci_u32_e64 v12, null, s9, 0, s3
	;; [unrolled: 3-line block ×3, first 2 shown]
	v_add_co_u32 v5, s3, s18, v27
	global_load_b64 v[19:20], v[9:10], off
	s_wait_alu 0xf1ff
	v_add_co_ci_u32_e64 v6, null, s19, 0, s3
	global_load_b64 v[13:14], v[11:12], off
	global_load_b64 v[15:16], v[7:8], off
	;; [unrolled: 1-line block ×3, first 2 shown]
	s_and_not1_b32 vcc_lo, exec_lo, s36
	s_wait_loadcnt 0x3
	v_cvt_f32_f16_e32 v1, v19
	s_wait_alu 0xfffe
	s_cbranch_vccnz .LBB3_12
; %bb.11:                               ;   in Loop: Header=BB3_10 Depth=1
	global_load_b32 v29, v2, s[12:13]
	s_wait_loadcnt 0x0
	v_div_scale_f32 v30, null, v29, v29, v1
	s_delay_alu instid0(VALU_DEP_1) | instskip(NEXT) | instid1(TRANS32_DEP_1)
	v_rcp_f32_e32 v31, v30
	v_fma_f32 v32, -v30, v31, 1.0
	s_delay_alu instid0(VALU_DEP_1) | instskip(SKIP_1) | instid1(VALU_DEP_1)
	v_fmac_f32_e32 v31, v32, v31
	v_div_scale_f32 v32, vcc_lo, v1, v29, v1
	v_mul_f32_e32 v33, v32, v31
	s_delay_alu instid0(VALU_DEP_1) | instskip(NEXT) | instid1(VALU_DEP_1)
	v_fma_f32 v34, -v30, v33, v32
	v_fmac_f32_e32 v33, v34, v31
	s_delay_alu instid0(VALU_DEP_1) | instskip(SKIP_1) | instid1(VALU_DEP_1)
	v_fma_f32 v30, -v30, v33, v32
	s_wait_alu 0xfffd
	v_div_fmas_f32 v30, v30, v31, v33
	s_delay_alu instid0(VALU_DEP_1)
	v_div_fixup_f32 v1, v30, v29, v1
.LBB3_12:                               ;   in Loop: Header=BB3_10 Depth=1
	v_lshrrev_b32_e32 v19, 16, v19
	s_and_not1_b32 vcc_lo, exec_lo, s36
	s_delay_alu instid0(VALU_DEP_1)
	v_cvt_f32_f16_e32 v19, v19
	s_wait_alu 0xfffe
	s_cbranch_vccnz .LBB3_14
; %bb.13:                               ;   in Loop: Header=BB3_10 Depth=1
	global_load_b32 v29, v2, s[12:13]
	s_wait_loadcnt 0x0
	v_div_scale_f32 v30, null, v29, v29, v19
	s_delay_alu instid0(VALU_DEP_1) | instskip(NEXT) | instid1(TRANS32_DEP_1)
	v_rcp_f32_e32 v31, v30
	v_fma_f32 v32, -v30, v31, 1.0
	s_delay_alu instid0(VALU_DEP_1) | instskip(SKIP_1) | instid1(VALU_DEP_1)
	v_fmac_f32_e32 v31, v32, v31
	v_div_scale_f32 v32, vcc_lo, v19, v29, v19
	v_mul_f32_e32 v33, v32, v31
	s_delay_alu instid0(VALU_DEP_1) | instskip(NEXT) | instid1(VALU_DEP_1)
	v_fma_f32 v34, -v30, v33, v32
	v_fmac_f32_e32 v33, v34, v31
	s_delay_alu instid0(VALU_DEP_1) | instskip(SKIP_1) | instid1(VALU_DEP_1)
	v_fma_f32 v30, -v30, v33, v32
	s_wait_alu 0xfffd
	v_div_fmas_f32 v30, v30, v31, v33
	s_delay_alu instid0(VALU_DEP_1)
	v_div_fixup_f32 v19, v30, v29, v19
.LBB3_14:                               ;   in Loop: Header=BB3_10 Depth=1
	v_cvt_f32_f16_e32 v29, v20
	s_and_not1_b32 vcc_lo, exec_lo, s36
	s_wait_alu 0xfffe
	s_cbranch_vccnz .LBB3_16
; %bb.15:                               ;   in Loop: Header=BB3_10 Depth=1
	global_load_b32 v30, v2, s[12:13]
	s_wait_loadcnt 0x0
	v_div_scale_f32 v31, null, v30, v30, v29
	s_delay_alu instid0(VALU_DEP_1) | instskip(NEXT) | instid1(TRANS32_DEP_1)
	v_rcp_f32_e32 v32, v31
	v_fma_f32 v33, -v31, v32, 1.0
	s_delay_alu instid0(VALU_DEP_1) | instskip(SKIP_1) | instid1(VALU_DEP_1)
	v_fmac_f32_e32 v32, v33, v32
	v_div_scale_f32 v33, vcc_lo, v29, v30, v29
	v_mul_f32_e32 v34, v33, v32
	s_delay_alu instid0(VALU_DEP_1) | instskip(NEXT) | instid1(VALU_DEP_1)
	v_fma_f32 v35, -v31, v34, v33
	v_fmac_f32_e32 v34, v35, v32
	s_delay_alu instid0(VALU_DEP_1) | instskip(SKIP_1) | instid1(VALU_DEP_1)
	v_fma_f32 v31, -v31, v34, v33
	s_wait_alu 0xfffd
	v_div_fmas_f32 v31, v31, v32, v34
	s_delay_alu instid0(VALU_DEP_1)
	v_div_fixup_f32 v29, v31, v30, v29
.LBB3_16:                               ;   in Loop: Header=BB3_10 Depth=1
	v_lshrrev_b32_e32 v20, 16, v20
	s_and_not1_b32 vcc_lo, exec_lo, s36
	s_delay_alu instid0(VALU_DEP_1)
	v_cvt_f32_f16_e32 v30, v20
	s_wait_alu 0xfffe
	s_cbranch_vccnz .LBB3_18
; %bb.17:                               ;   in Loop: Header=BB3_10 Depth=1
	global_load_b32 v20, v2, s[12:13]
	s_wait_loadcnt 0x0
	v_div_scale_f32 v31, null, v20, v20, v30
	s_delay_alu instid0(VALU_DEP_1) | instskip(NEXT) | instid1(TRANS32_DEP_1)
	v_rcp_f32_e32 v32, v31
	v_fma_f32 v33, -v31, v32, 1.0
	s_delay_alu instid0(VALU_DEP_1) | instskip(SKIP_1) | instid1(VALU_DEP_1)
	v_fmac_f32_e32 v32, v33, v32
	v_div_scale_f32 v33, vcc_lo, v30, v20, v30
	v_mul_f32_e32 v34, v33, v32
	s_delay_alu instid0(VALU_DEP_1) | instskip(NEXT) | instid1(VALU_DEP_1)
	v_fma_f32 v35, -v31, v34, v33
	v_fmac_f32_e32 v34, v35, v32
	s_delay_alu instid0(VALU_DEP_1) | instskip(SKIP_1) | instid1(VALU_DEP_1)
	v_fma_f32 v31, -v31, v34, v33
	s_wait_alu 0xfffd
	v_div_fmas_f32 v31, v31, v32, v34
	s_delay_alu instid0(VALU_DEP_1)
	v_div_fixup_f32 v30, v31, v20, v30
.LBB3_18:                               ;   in Loop: Header=BB3_10 Depth=1
	v_cndmask_b32_e64 v20, v29, -v29, s33
	v_cndmask_b32_e64 v42, v1, -v1, s33
	s_wait_loadcnt 0x2
	s_delay_alu instid0(VALU_DEP_2) | instskip(NEXT) | instid1(VALU_DEP_2)
	v_fma_mix_f32 v31, v23, v14, v20 op_sel_hi:[0,1,0]
	v_fma_mix_f32 v46, v23, v13, v42 op_sel_hi:[0,1,0]
	s_delay_alu instid0(VALU_DEP_2) | instskip(NEXT) | instid1(VALU_DEP_1)
	v_cndmask_b32_e64 v32, v20, v31, s2
	v_mul_f32_e32 v20, v32, v32
	v_fma_f32 v32, -v22, v32, v32
	s_delay_alu instid0(VALU_DEP_2) | instskip(SKIP_1) | instid1(VALU_DEP_2)
	v_fma_f32 v20, -v21, v20, v20
	s_wait_loadcnt 0x1
	v_fma_mix_f32 v32, v22, v16, v32 op_sel_hi:[0,1,0]
	s_wait_loadcnt 0x0
	s_delay_alu instid0(VALU_DEP_2) | instskip(NEXT) | instid1(VALU_DEP_1)
	v_fma_mix_f32 v20, v21, v18, v20 op_sel_hi:[0,1,0]
	v_mul_f32_e32 v31, 0x4f800000, v20
	v_cmp_gt_f32_e32 vcc_lo, 0xf800000, v20
	s_wait_alu 0xfffd
	s_delay_alu instid0(VALU_DEP_2) | instskip(NEXT) | instid1(VALU_DEP_1)
	v_cndmask_b32_e32 v31, v20, v31, vcc_lo
	v_sqrt_f32_e32 v33, v31
	s_delay_alu instid0(TRANS32_DEP_1) | instskip(SKIP_1) | instid1(VALU_DEP_2)
	v_add_nc_u32_e32 v34, -1, v33
	v_add_nc_u32_e32 v35, 1, v33
	v_fma_f32 v36, -v34, v33, v31
	s_delay_alu instid0(VALU_DEP_2) | instskip(NEXT) | instid1(VALU_DEP_2)
	v_fma_f32 v37, -v35, v33, v31
	v_cmp_ge_f32_e64 s3, 0, v36
	s_wait_alu 0xf1ff
	s_delay_alu instid0(VALU_DEP_1) | instskip(NEXT) | instid1(VALU_DEP_3)
	v_cndmask_b32_e64 v33, v33, v34, s3
	v_cmp_lt_f32_e64 s3, 0, v37
	v_cndmask_b32_e64 v34, v19, -v19, s33
	s_wait_alu 0xf1ff
	s_delay_alu instid0(VALU_DEP_2) | instskip(NEXT) | instid1(VALU_DEP_2)
	v_cndmask_b32_e64 v33, v33, v35, s3
	v_fma_mix_f32 v35, v23, v13, v34 op_sel:[0,1,0] op_sel_hi:[0,1,0]
	s_delay_alu instid0(VALU_DEP_2) | instskip(NEXT) | instid1(VALU_DEP_2)
	v_mul_f32_e32 v36, 0x37800000, v33
	v_cndmask_b32_e64 v34, v34, v35, s2
	s_delay_alu instid0(VALU_DEP_2) | instskip(SKIP_2) | instid1(VALU_DEP_2)
	v_cndmask_b32_e32 v33, v33, v36, vcc_lo
	v_cmp_class_f32_e64 vcc_lo, v31, 0x260
	s_wait_alu 0xfffd
	v_cndmask_b32_e32 v33, v33, v31, vcc_lo
	s_delay_alu instid0(VALU_DEP_1) | instskip(SKIP_2) | instid1(VALU_DEP_2)
	v_div_scale_f32 v40, vcc_lo, v33, s34, v33
	v_mul_f32_e32 v35, v34, v34
	v_fma_f32 v34, -v22, v34, v34
	v_fma_f32 v31, -v21, v35, v35
	v_div_scale_f32 v35, null, s34, s34, v33
	s_delay_alu instid0(VALU_DEP_2) | instskip(NEXT) | instid1(VALU_DEP_2)
	v_fma_mix_f32 v31, v21, v17, v31 op_sel:[0,1,0] op_sel_hi:[0,1,0]
	v_rcp_f32_e32 v36, v35
	s_delay_alu instid0(VALU_DEP_1) | instskip(NEXT) | instid1(TRANS32_DEP_1)
	v_cmp_gt_f32_e64 s3, 0xf800000, v31
	v_fma_f32 v38, -v35, v36, 1.0
	s_delay_alu instid0(VALU_DEP_1) | instskip(NEXT) | instid1(VALU_DEP_1)
	v_fmac_f32_e32 v36, v38, v36
	v_mul_f32_e32 v38, v40, v36
	s_delay_alu instid0(VALU_DEP_1) | instskip(NEXT) | instid1(VALU_DEP_1)
	v_fma_f32 v44, -v35, v38, v40
	v_dual_mul_f32 v37, 0x4f800000, v31 :: v_dual_fmac_f32 v38, v44, v36
	s_wait_alu 0xf1ff
	s_delay_alu instid0(VALU_DEP_1) | instskip(NEXT) | instid1(VALU_DEP_2)
	v_cndmask_b32_e64 v37, v31, v37, s3
	v_fma_f32 v35, -v35, v38, v40
	s_delay_alu instid0(VALU_DEP_2) | instskip(SKIP_1) | instid1(VALU_DEP_1)
	v_sqrt_f32_e32 v39, v37
	s_wait_alu 0xfffd
	v_div_fmas_f32 v35, v35, v36, v38
	v_cmp_class_f32_e64 vcc_lo, v37, 0x260
	s_delay_alu instid0(VALU_DEP_2) | instskip(NEXT) | instid1(TRANS32_DEP_1)
	v_div_fixup_f32 v33, v35, s34, v33
	v_add_nc_u32_e32 v41, -1, v39
	v_add_nc_u32_e32 v43, 1, v39
	s_delay_alu instid0(VALU_DEP_2) | instskip(NEXT) | instid1(VALU_DEP_2)
	v_fma_f32 v45, -v41, v39, v37
	v_fma_f32 v47, -v43, v39, v37
	s_delay_alu instid0(VALU_DEP_2) | instskip(SKIP_1) | instid1(VALU_DEP_1)
	v_cmp_ge_f32_e64 s4, 0, v45
	s_wait_alu 0xf1ff
	v_cndmask_b32_e64 v39, v39, v41, s4
	v_cndmask_b32_e64 v41, v42, v46, s2
	v_cmp_lt_f32_e64 s4, 0, v47
	s_delay_alu instid0(VALU_DEP_2) | instskip(SKIP_1) | instid1(VALU_DEP_2)
	v_mul_f32_e32 v38, v41, v41
	s_wait_alu 0xf1ff
	v_cndmask_b32_e64 v39, v39, v43, s4
	v_cndmask_b32_e64 v43, v30, -v30, s33
	v_fma_f32 v41, -v22, v41, v41
	s_delay_alu instid0(VALU_DEP_3) | instskip(NEXT) | instid1(VALU_DEP_3)
	v_mul_f32_e32 v36, 0x37800000, v39
	v_fma_mix_f32 v49, v23, v14, v43 op_sel:[0,1,0] op_sel_hi:[0,1,0]
	s_delay_alu instid0(VALU_DEP_2) | instskip(SKIP_2) | instid1(VALU_DEP_4)
	v_cndmask_b32_e64 v35, v39, v36, s3
	v_fma_f32 v36, -v21, v38, v38
	v_mul_f32_e32 v38, v28, v32
	v_cndmask_b32_e64 v43, v43, v49, s2
	s_wait_alu 0xfffd
	v_cndmask_b32_e32 v35, v35, v37, vcc_lo
	v_fma_mix_f32 v17, v21, v17, v36 op_sel_hi:[0,1,0]
	v_add_f32_e32 v39, v33, v24
	s_delay_alu instid0(VALU_DEP_3) | instskip(NEXT) | instid1(VALU_DEP_3)
	v_div_scale_f32 v36, null, s34, s34, v35
	v_mul_f32_e32 v40, 0x4f800000, v17
	s_delay_alu instid0(VALU_DEP_3) | instskip(NEXT) | instid1(VALU_DEP_3)
	v_div_scale_f32 v33, null, v39, v39, v38
	v_rcp_f32_e32 v42, v36
	v_cmp_gt_f32_e64 s3, 0xf800000, v17
	v_div_scale_f32 v47, vcc_lo, v38, v39, v38
	s_delay_alu instid0(VALU_DEP_3) | instskip(SKIP_1) | instid1(VALU_DEP_2)
	v_rcp_f32_e32 v37, v33
	s_wait_alu 0xf1ff
	v_cndmask_b32_e64 v40, v17, v40, s3
	s_delay_alu instid0(TRANS32_DEP_2) | instskip(NEXT) | instid1(VALU_DEP_2)
	v_fma_f32 v46, -v36, v42, 1.0
	v_sqrt_f32_e32 v45, v40
	s_delay_alu instid0(TRANS32_DEP_2) | instskip(NEXT) | instid1(VALU_DEP_1)
	v_fma_f32 v44, -v33, v37, 1.0
	v_dual_fmac_f32 v42, v46, v42 :: v_dual_fmac_f32 v37, v44, v37
	v_div_scale_f32 v44, s4, v35, s34, v35
	s_delay_alu instid0(TRANS32_DEP_1) | instid1(VALU_DEP_1)
	v_dual_mul_f32 v50, v44, v42 :: v_dual_add_nc_u32 v51, 1, v45
	s_delay_alu instid0(VALU_DEP_1) | instskip(NEXT) | instid1(VALU_DEP_2)
	v_fma_f32 v54, -v51, v45, v40
	v_fma_f32 v49, -v36, v50, v44
	s_delay_alu instid0(VALU_DEP_1) | instskip(SKIP_1) | instid1(VALU_DEP_2)
	v_fmac_f32_e32 v50, v49, v42
	v_mul_f32_e32 v46, v47, v37
	v_fma_f32 v36, -v36, v50, v44
	s_delay_alu instid0(VALU_DEP_2) | instskip(SKIP_2) | instid1(VALU_DEP_3)
	v_fma_f32 v52, -v33, v46, v47
	v_mul_f32_e32 v44, v43, v43
	v_fma_f32 v43, -v22, v43, v43
	v_fmac_f32_e32 v46, v52, v37
	s_delay_alu instid0(VALU_DEP_2) | instskip(NEXT) | instid1(VALU_DEP_2)
	v_fma_mix_f32 v16, v22, v16, v43 op_sel:[0,1,0] op_sel_hi:[0,1,0]
	v_fma_f32 v33, -v33, v46, v47
	s_delay_alu instid0(VALU_DEP_2) | instskip(SKIP_1) | instid1(VALU_DEP_2)
	v_mul_f32_e32 v43, v28, v16
	s_wait_alu 0xfffd
	v_div_fmas_f32 v37, v33, v37, v46
	s_mov_b32 vcc_lo, s4
	v_fma_mix_f32 v33, v22, v15, v34 op_sel:[0,1,0] op_sel_hi:[0,1,0]
	s_wait_alu 0xfffe
	v_div_fmas_f32 v36, v36, v42, v50
	v_cmp_class_f32_e64 vcc_lo, v40, 0x260
	v_add_nc_u32_e32 v48, -1, v45
	v_fma_mix_f32 v15, v22, v15, v41 op_sel_hi:[0,1,0]
	v_div_fixup_f32 v37, v37, v39, v38
	v_div_fixup_f32 v34, v36, s34, v35
	v_fma_f32 v36, -v21, v44, v44
	v_fma_f32 v53, -v48, v45, v40
	s_delay_alu instid0(VALU_DEP_3) | instskip(NEXT) | instid1(VALU_DEP_3)
	v_dual_mul_f32 v41, v28, v15 :: v_dual_add_f32 v34, v34, v24
	v_fma_mix_f32 v18, v21, v18, v36 op_sel:[0,1,0] op_sel_hi:[0,1,0]
	s_delay_alu instid0(VALU_DEP_3) | instskip(SKIP_1) | instid1(VALU_DEP_1)
	v_cmp_ge_f32_e64 s5, 0, v53
	s_wait_alu 0xf1ff
	v_cndmask_b32_e64 v45, v45, v48, s5
	v_cmp_lt_f32_e64 s5, 0, v54
	s_wait_alu 0xf1ff
	s_delay_alu instid0(VALU_DEP_1) | instskip(NEXT) | instid1(VALU_DEP_1)
	v_cndmask_b32_e64 v45, v45, v51, s5
	v_mul_f32_e32 v42, 0x37800000, v45
	s_delay_alu instid0(VALU_DEP_1) | instskip(SKIP_3) | instid1(VALU_DEP_3)
	v_cndmask_b32_e64 v35, v45, v42, s3
	v_dual_mul_f32 v42, v28, v33 :: v_dual_mul_f32 v45, 0x4f800000, v18
	v_cmp_gt_f32_e64 s3, 0xf800000, v18
	s_wait_alu 0xfffd
	v_cndmask_b32_e32 v35, v35, v40, vcc_lo
	s_delay_alu instid0(VALU_DEP_3)
	v_div_scale_f32 v36, null, v34, v34, v42
	s_wait_alu 0xf1ff
	v_cndmask_b32_e64 v45, v18, v45, s3
	v_div_scale_f32 v50, vcc_lo, v42, v34, v42
	v_div_scale_f32 v40, null, s34, s34, v35
	v_rcp_f32_e32 v44, v36
	s_delay_alu instid0(VALU_DEP_3) | instskip(NEXT) | instid1(VALU_DEP_1)
	v_sqrt_f32_e32 v48, v45
	v_rcp_f32_e32 v46, v40
	s_delay_alu instid0(TRANS32_DEP_3) | instskip(NEXT) | instid1(TRANS32_DEP_2)
	v_fma_f32 v47, -v36, v44, 1.0
	v_add_nc_u32_e32 v51, -1, v48
	v_add_nc_u32_e32 v53, 1, v48
	s_delay_alu instid0(TRANS32_DEP_1) | instskip(NEXT) | instid1(VALU_DEP_4)
	v_fma_f32 v49, -v40, v46, 1.0
	v_fmac_f32_e32 v44, v47, v44
	v_div_scale_f32 v47, s4, v35, s34, v35
	s_delay_alu instid0(VALU_DEP_3) | instskip(SKIP_1) | instid1(VALU_DEP_4)
	v_fmac_f32_e32 v46, v49, v46
	v_fma_f32 v55, -v51, v48, v45
	v_mul_f32_e32 v49, v50, v44
	v_fma_f32 v57, -v53, v48, v45
	s_delay_alu instid0(VALU_DEP_4) | instskip(NEXT) | instid1(VALU_DEP_4)
	v_mul_f32_e32 v52, v47, v46
	v_cmp_ge_f32_e64 s5, 0, v55
	s_delay_alu instid0(VALU_DEP_4) | instskip(NEXT) | instid1(VALU_DEP_3)
	v_fma_f32 v54, -v36, v49, v50
	v_fma_f32 v56, -v40, v52, v47
	s_wait_alu 0xf1ff
	s_delay_alu instid0(VALU_DEP_3) | instskip(NEXT) | instid1(VALU_DEP_3)
	v_cndmask_b32_e64 v48, v48, v51, s5
	v_fmac_f32_e32 v49, v54, v44
	v_cmp_lt_f32_e64 s5, 0, v57
	v_fmac_f32_e32 v52, v56, v46
	s_delay_alu instid0(VALU_DEP_3) | instskip(SKIP_1) | instid1(VALU_DEP_3)
	v_fma_f32 v36, -v36, v49, v50
	s_wait_alu 0xf1ff
	v_cndmask_b32_e64 v48, v48, v53, s5
	s_delay_alu instid0(VALU_DEP_3)
	v_fma_f32 v40, -v40, v52, v47
	s_wait_alu 0xfffd
	v_div_fmas_f32 v36, v36, v44, v49
	s_mov_b32 vcc_lo, s4
	v_mul_f32_e32 v44, 0x37800000, v48
	s_wait_alu 0xfffe
	v_div_fmas_f32 v40, v40, v46, v52
	v_cmp_class_f32_e64 vcc_lo, v45, 0x260
	v_div_fixup_f32 v34, v36, v34, v42
	s_delay_alu instid0(VALU_DEP_3) | instskip(SKIP_2) | instid1(VALU_DEP_1)
	v_div_fixup_f32 v35, v40, s34, v35
	v_cndmask_b32_e64 v40, v48, v44, s3
	s_wait_alu 0xfffd
	v_dual_add_f32 v35, v35, v24 :: v_dual_cndmask_b32 v40, v40, v45
	s_delay_alu instid0(VALU_DEP_1) | instskip(NEXT) | instid1(VALU_DEP_2)
	v_div_scale_f32 v44, null, v35, v35, v41
	v_div_scale_f32 v45, null, s34, s34, v40
	v_div_scale_f32 v50, vcc_lo, v41, v35, v41
	s_delay_alu instid0(VALU_DEP_3) | instskip(NEXT) | instid1(VALU_DEP_2)
	v_rcp_f32_e32 v46, v44
	v_rcp_f32_e32 v47, v45
	s_delay_alu instid0(TRANS32_DEP_2) | instskip(NEXT) | instid1(TRANS32_DEP_1)
	v_fma_f32 v48, -v44, v46, 1.0
	v_fma_f32 v49, -v45, v47, 1.0
	s_delay_alu instid0(VALU_DEP_2) | instskip(SKIP_1) | instid1(VALU_DEP_3)
	v_fmac_f32_e32 v46, v48, v46
	v_div_scale_f32 v48, s3, v40, s34, v40
	v_fmac_f32_e32 v47, v49, v47
	s_delay_alu instid0(VALU_DEP_3) | instskip(NEXT) | instid1(VALU_DEP_2)
	v_mul_f32_e32 v49, v50, v46
	v_mul_f32_e32 v51, v48, v47
	s_delay_alu instid0(VALU_DEP_2) | instskip(NEXT) | instid1(VALU_DEP_2)
	v_fma_f32 v52, -v44, v49, v50
	v_fma_f32 v53, -v45, v51, v48
	s_delay_alu instid0(VALU_DEP_2) | instskip(NEXT) | instid1(VALU_DEP_2)
	v_fmac_f32_e32 v49, v52, v46
	v_fmac_f32_e32 v51, v53, v47
	s_delay_alu instid0(VALU_DEP_2) | instskip(NEXT) | instid1(VALU_DEP_2)
	v_fma_f32 v44, -v44, v49, v50
	v_fma_f32 v45, -v45, v51, v48
	s_wait_alu 0xfffd
	s_delay_alu instid0(VALU_DEP_2) | instskip(SKIP_3) | instid1(VALU_DEP_2)
	v_div_fmas_f32 v44, v44, v46, v49
	s_mov_b32 vcc_lo, s3
	s_wait_alu 0xfffe
	v_div_fmas_f32 v45, v45, v47, v51
	v_div_fixup_f32 v35, v44, v35, v41
	s_delay_alu instid0(VALU_DEP_2) | instskip(NEXT) | instid1(VALU_DEP_1)
	v_div_fixup_f32 v40, v45, s34, v40
	v_add_f32_e32 v40, v40, v24
	s_delay_alu instid0(VALU_DEP_1) | instskip(NEXT) | instid1(VALU_DEP_1)
	v_div_scale_f32 v45, null, v40, v40, v43
	v_rcp_f32_e32 v46, v45
	s_delay_alu instid0(TRANS32_DEP_1) | instskip(NEXT) | instid1(VALU_DEP_1)
	v_fma_f32 v47, -v45, v46, 1.0
	v_fmac_f32_e32 v46, v47, v46
	v_div_scale_f32 v48, vcc_lo, v43, v40, v43
	s_delay_alu instid0(VALU_DEP_1) | instskip(NEXT) | instid1(VALU_DEP_1)
	v_mul_f32_e32 v47, v48, v46
	v_fma_f32 v49, -v45, v47, v48
	s_delay_alu instid0(VALU_DEP_1) | instskip(SKIP_2) | instid1(VALU_DEP_3)
	v_fmac_f32_e32 v47, v49, v46
	v_cvt_f32_f16_e32 v49, v14
	v_lshrrev_b32_e32 v14, 16, v14
	v_fma_f32 v45, -v45, v47, v48
	v_lshrrev_b32_e32 v48, 16, v13
	v_cvt_f32_f16_e32 v13, v13
	s_delay_alu instid0(VALU_DEP_4)
	v_cvt_f32_f16_e32 v14, v14
	v_sub_f32_e32 v37, v49, v37
	s_wait_alu 0xfffd
	v_div_fmas_f32 v45, v45, v46, v47
	v_cvt_f32_f16_e32 v46, v48
	v_sub_f32_e32 v13, v13, v35
	s_and_not1_b32 vcc_lo, exec_lo, s36
	v_cvt_f16_f32_e32 v35, v37
	v_div_fixup_f32 v36, v45, v40, v43
	v_sub_f32_e32 v34, v46, v34
	v_cvt_f16_f32_e32 v13, v13
	s_delay_alu instid0(VALU_DEP_3) | instskip(NEXT) | instid1(VALU_DEP_3)
	v_sub_f32_e32 v14, v14, v36
	v_cvt_f16_f32_e32 v34, v34
	s_delay_alu instid0(VALU_DEP_2) | instskip(NEXT) | instid1(VALU_DEP_2)
	v_cvt_f16_f32_e32 v14, v14
	v_pack_b32_f16 v13, v13, v34
	s_delay_alu instid0(VALU_DEP_2)
	v_pack_b32_f16 v14, v35, v14
	global_store_b64 v[11:12], v[13:14], off
	s_wait_alu 0xfffe
	s_cbranch_vccnz .LBB3_9
; %bb.19:                               ;   in Loop: Header=BB3_10 Depth=1
	v_cvt_f16_f32_e32 v11, v29
	v_cvt_f16_f32_e32 v13, v19
	;; [unrolled: 1-line block ×4, first 2 shown]
	s_delay_alu instid0(VALU_DEP_2) | instskip(NEXT) | instid1(VALU_DEP_2)
	v_pack_b32_f16 v12, v11, v12
	v_pack_b32_f16 v11, v1, v13
	global_store_b64 v[9:10], v[11:12], off
	s_branch .LBB3_9
.LBB3_20:
                                        ; implicit-def: $sgpr2
	v_mov_b32_e32 v25, s2
	s_branch .LBB3_2
.LBB3_21:
	s_or_b32 exec_lo, exec_lo, s35
	s_mov_b32 s2, 0
.LBB3_22:
	s_wait_alu 0xfffe
	s_and_not1_b32 vcc_lo, exec_lo, s2
	s_wait_alu 0xfffe
	s_cbranch_vccnz .LBB3_84
; %bb.23:
	v_cmp_lt_i64_e64 s2, s[10:11], 1
	s_and_b32 vcc_lo, exec_lo, s2
	s_wait_alu 0xfffe
	s_cbranch_vccnz .LBB3_84
; %bb.24:
	v_div_scale_f32 v1, null, v26, v26, v25
	s_load_b32 s1, s[0:1], 0xd64
	v_div_scale_f32 v12, vcc_lo, v25, v26, v25
	v_rcp_f32_e32 v11, v1
	v_xor_b32_e32 v9, 0x80000000, v1
	v_cmp_gt_i64_e64 s2, 0x10000, s[10:11]
	v_cmp_gt_u64_e64 s3, 0x10000, s[10:11]
	v_dual_mov_b32 v2, 0 :: v_dual_lshlrev_b32 v1, 1, v0
	v_cmp_neq_f32_e64 s0, 0, v23
	s_mov_b32 s15, 0
	s_and_b32 s2, s2, exec_lo
	s_cselect_b32 s9, s11, 0
	s_delay_alu instid0(TRANS32_DEP_1)
	v_fma_f32 v5, v9, v11, 1.0
	s_cselect_b32 s8, s10, 0x10000
	v_add_co_u32 v3, s4, s20, v1
	s_wait_alu 0xf1ff
	v_add_co_ci_u32_e64 v4, null, s21, 0, s4
	v_fmac_f32_e32 v11, v5, v11
	s_wait_kmcnt 0x0
	s_and_b32 s1, s1, 0xffff
	s_and_b32 s2, s3, exec_lo
	s_cselect_b32 s11, s11, 0
	s_cselect_b32 s10, s10, 0x10000
	v_mul_f32_e32 v13, v12, v11
	s_wait_alu 0xfffe
	s_lshl_b32 s2, s1, 1
	v_add_co_u32 v5, s4, s22, v1
	s_cmp_lg_u64 s[12:13], 0
	v_fma_f32 v10, v9, v13, v12
	s_wait_alu 0xf1ff
	v_add_co_ci_u32_e64 v6, null, s23, 0, s4
	v_add_co_u32 v7, s4, s24, v1
	s_delay_alu instid0(VALU_DEP_3) | instskip(SKIP_3) | instid1(VALU_DEP_2)
	v_fmac_f32_e32 v13, v10, v11
	s_cselect_b32 s18, -1, 0
	s_lshl_b32 s14, s1, 2
	v_mad_co_u64_u32 v[18:19], null, s1, 6, v[1:2]
	v_fmac_f32_e32 v12, v9, v13
	v_add_co_u32 v9, s3, s26, v1
	s_wait_alu 0xf1ff
	v_add_co_ci_u32_e64 v10, null, s27, 0, s3
	s_mul_i32 s3, s1, 3
	v_add_co_ci_u32_e64 v8, null, s25, 0, s4
	s_wait_alu 0xfffe
	v_add_co_u32 v32, s4, s14, v1
	v_add_co_u32 v1, s3, s3, v0
	s_wait_alu 0xf1ff
	v_add_co_ci_u32_e64 v20, null, 0, 0, s3
	v_add_co_u32 v31, s3, v0, s1
	v_add_co_ci_u32_e64 v33, null, 0, 0, s4
	v_add_co_u32 v35, s2, s2, v0
	s_delay_alu instid0(VALU_DEP_3)
	v_lshlrev_b32_e32 v43, 1, v31
	s_wait_alu 0xfffd
	v_div_fmas_f32 v11, v12, v11, v13
	v_add_co_u32 v12, vcc_lo, s20, v18
	s_wait_alu 0xfffd
	v_add_co_ci_u32_e64 v13, null, s21, v19, vcc_lo
	v_add_co_u32 v14, vcc_lo, s22, v18
	s_wait_alu 0xfffd
	v_add_co_ci_u32_e64 v15, null, s23, v19, vcc_lo
	;; [unrolled: 3-line block ×3, first 2 shown]
	v_add_co_u32 v18, vcc_lo, s26, v18
	v_div_fixup_f32 v11, v11, v26, v25
	s_wait_alu 0xfffd
	v_add_co_ci_u32_e64 v19, null, s27, v19, vcc_lo
	v_add_co_u32 v25, vcc_lo, s20, v32
	s_wait_alu 0xf1ff
	v_add_co_ci_u32_e64 v36, null, 0, 0, s2
	v_add_co_u32 v37, s2, s20, v43
	s_wait_alu 0xfffd
	v_add_co_ci_u32_e64 v26, null, s21, v33, vcc_lo
	v_add_co_u32 v27, vcc_lo, s22, v32
	s_wait_alu 0xf1ff
	v_add_co_ci_u32_e64 v38, null, s21, 0, s2
	v_add_co_u32 v39, s2, s22, v43
	;; [unrolled: 6-line block ×4, first 2 shown]
	s_wait_alu 0xfffd
	v_add_co_ci_u32_e64 v33, null, s27, v33, vcc_lo
	v_add_co_ci_u32_e64 v34, null, 0, 0, s3
	s_wait_alu 0xf1ff
	v_add_co_ci_u32_e64 v44, null, s27, 0, s2
	s_mov_b64 s[16:17], 0
	s_lshl_b32 s19, s1, 3
	s_branch .LBB3_26
.LBB3_25:                               ;   in Loop: Header=BB3_26 Depth=1
	s_wait_alu 0xfffe
	s_or_b32 exec_lo, exec_lo, s1
	v_add_co_u32 v3, vcc_lo, v3, s19
	s_wait_alu 0xfffd
	v_add_co_ci_u32_e64 v4, null, 0, v4, vcc_lo
	v_add_co_u32 v5, vcc_lo, v5, s19
	s_wait_alu 0xfffd
	v_add_co_ci_u32_e64 v6, null, 0, v6, vcc_lo
	;; [unrolled: 3-line block ×13, first 2 shown]
	v_add_co_u32 v39, vcc_lo, v39, s19
	s_add_nc_u64 s[16:17], s[16:17], s[14:15]
	s_wait_alu 0xfffd
	v_add_co_ci_u32_e64 v40, null, 0, v40, vcc_lo
	v_add_co_u32 v41, vcc_lo, v41, s19
	s_wait_alu 0xfffe
	v_cmp_ge_i64_e64 s1, s[16:17], s[8:9]
	s_wait_alu 0xfffd
	v_add_co_ci_u32_e64 v42, null, 0, v42, vcc_lo
	v_add_co_u32 v43, vcc_lo, v43, s19
	s_wait_alu 0xfffd
	v_add_co_ci_u32_e64 v44, null, 0, v44, vcc_lo
	s_and_b32 vcc_lo, exec_lo, s1
	s_wait_alu 0xfffe
	s_cbranch_vccnz .LBB3_84
.LBB3_26:                               ; =>This Inner Loop Header: Depth=1
	s_wait_alu 0xfffe
	v_add_co_u32 v45, s1, v0, s16
	s_wait_alu 0xf1ff
	v_add_co_ci_u32_e64 v46, null, 0, s17, s1
	v_mov_b32_e32 v53, 0
	s_delay_alu instid0(VALU_DEP_2)
	v_cmp_gt_u64_e64 s1, s[10:11], v[45:46]
	v_mov_b32_e32 v45, 0
	s_and_saveexec_b32 s2, s1
	s_cbranch_execz .LBB3_28
; %bb.27:                               ;   in Loop: Header=BB3_26 Depth=1
	v_add_co_u32 v45, vcc_lo, v3, s6
	s_wait_alu 0xfffd
	v_add_co_ci_u32_e64 v46, null, s7, v4, vcc_lo
	v_add_co_u32 v47, vcc_lo, v5, s6
	s_wait_alu 0xfffd
	v_add_co_ci_u32_e64 v48, null, s7, v6, vcc_lo
	global_load_u16 v45, v[45:46], off
	global_load_u16 v46, v[47:48], off
	s_wait_loadcnt 0x1
	v_cvt_f32_f16_e32 v53, v45
	s_wait_loadcnt 0x0
	v_cvt_f32_f16_e32 v45, v46
.LBB3_28:                               ;   in Loop: Header=BB3_26 Depth=1
	s_wait_alu 0xfffe
	s_or_b32 exec_lo, exec_lo, s2
	v_dual_mov_b32 v46, 0 :: v_dual_mov_b32 v61, 0
	v_mov_b32_e32 v62, 0
	s_and_saveexec_b32 s2, s1
	s_cbranch_execz .LBB3_30
; %bb.29:                               ;   in Loop: Header=BB3_26 Depth=1
	v_add_co_u32 v47, vcc_lo, v7, s6
	s_wait_alu 0xfffd
	v_add_co_ci_u32_e64 v48, null, s7, v8, vcc_lo
	v_add_co_u32 v49, vcc_lo, v9, s6
	s_wait_alu 0xfffd
	v_add_co_ci_u32_e64 v50, null, s7, v10, vcc_lo
	global_load_u16 v47, v[47:48], off
	global_load_u16 v48, v[49:50], off
	s_wait_loadcnt 0x1
	v_cvt_f32_f16_e32 v62, v47
	s_wait_loadcnt 0x0
	v_cvt_f32_f16_e32 v61, v48
.LBB3_30:                               ;   in Loop: Header=BB3_26 Depth=1
	s_wait_alu 0xfffe
	s_or_b32 exec_lo, exec_lo, s2
	v_add_co_u32 v47, vcc_lo, v31, s16
	s_wait_alu 0xfffd
	v_add_co_ci_u32_e64 v48, null, s17, v34, vcc_lo
	v_mov_b32_e32 v52, 0
	s_delay_alu instid0(VALU_DEP_2)
	v_cmp_gt_u64_e64 s2, s[10:11], v[47:48]
	s_and_saveexec_b32 s3, s2
	s_cbranch_execz .LBB3_32
; %bb.31:                               ;   in Loop: Header=BB3_26 Depth=1
	v_add_co_u32 v46, vcc_lo, v37, s6
	s_wait_alu 0xfffd
	v_add_co_ci_u32_e64 v47, null, s7, v38, vcc_lo
	v_add_co_u32 v48, vcc_lo, v39, s6
	s_wait_alu 0xfffd
	v_add_co_ci_u32_e64 v49, null, s7, v40, vcc_lo
	global_load_u16 v46, v[46:47], off
	global_load_u16 v47, v[48:49], off
	s_wait_loadcnt 0x1
	v_cvt_f32_f16_e32 v52, v46
	s_wait_loadcnt 0x0
	v_cvt_f32_f16_e32 v46, v47
.LBB3_32:                               ;   in Loop: Header=BB3_26 Depth=1
	s_wait_alu 0xfffe
	s_or_b32 exec_lo, exec_lo, s3
	v_dual_mov_b32 v47, 0 :: v_dual_mov_b32 v60, 0
	v_mov_b32_e32 v59, 0
	s_and_saveexec_b32 s3, s2
	s_cbranch_execz .LBB3_34
; %bb.33:                               ;   in Loop: Header=BB3_26 Depth=1
	v_add_co_u32 v48, vcc_lo, v41, s6
	s_wait_alu 0xfffd
	v_add_co_ci_u32_e64 v49, null, s7, v42, vcc_lo
	v_add_co_u32 v50, vcc_lo, v43, s6
	s_wait_alu 0xfffd
	v_add_co_ci_u32_e64 v51, null, s7, v44, vcc_lo
	global_load_u16 v48, v[48:49], off
	global_load_u16 v49, v[50:51], off
	s_wait_loadcnt 0x1
	v_cvt_f32_f16_e32 v60, v48
	s_wait_loadcnt 0x0
	v_cvt_f32_f16_e32 v59, v49
.LBB3_34:                               ;   in Loop: Header=BB3_26 Depth=1
	s_wait_alu 0xfffe
	s_or_b32 exec_lo, exec_lo, s3
	v_add_co_u32 v48, vcc_lo, v35, s16
	s_wait_alu 0xfffd
	v_add_co_ci_u32_e64 v49, null, s17, v36, vcc_lo
	v_mov_b32_e32 v50, 0
	s_delay_alu instid0(VALU_DEP_2)
	v_cmp_gt_u64_e64 s3, s[10:11], v[48:49]
	;; [unrolled: 44-line block ×3, first 2 shown]
	s_and_saveexec_b32 s5, s4
	s_cbranch_execz .LBB3_40
; %bb.39:                               ;   in Loop: Header=BB3_26 Depth=1
	v_add_co_u32 v48, vcc_lo, v12, s6
	s_wait_alu 0xfffd
	v_add_co_ci_u32_e64 v49, null, s7, v13, vcc_lo
	v_add_co_u32 v54, vcc_lo, v14, s6
	s_wait_alu 0xfffd
	v_add_co_ci_u32_e64 v55, null, s7, v15, vcc_lo
	global_load_u16 v48, v[48:49], off
	global_load_u16 v51, v[54:55], off
	s_wait_loadcnt 0x1
	v_cvt_f32_f16_e32 v49, v48
	s_wait_loadcnt 0x0
	v_cvt_f32_f16_e32 v48, v51
.LBB3_40:                               ;   in Loop: Header=BB3_26 Depth=1
	s_wait_alu 0xfffe
	s_or_b32 exec_lo, exec_lo, s5
	v_dual_mov_b32 v55, 0 :: v_dual_mov_b32 v56, 0
	s_and_saveexec_b32 s5, s4
	s_cbranch_execz .LBB3_42
; %bb.41:                               ;   in Loop: Header=BB3_26 Depth=1
	v_add_co_u32 v54, vcc_lo, v16, s6
	s_wait_alu 0xfffd
	v_add_co_ci_u32_e64 v55, null, s7, v17, vcc_lo
	v_add_co_u32 v63, vcc_lo, v18, s6
	s_wait_alu 0xfffd
	v_add_co_ci_u32_e64 v64, null, s7, v19, vcc_lo
	global_load_u16 v51, v[54:55], off
	global_load_u16 v54, v[63:64], off
	s_wait_loadcnt 0x1
	v_cvt_f32_f16_e32 v56, v51
	s_wait_loadcnt 0x0
	v_cvt_f32_f16_e32 v55, v54
.LBB3_42:                               ;   in Loop: Header=BB3_26 Depth=1
	s_wait_alu 0xfffe
	s_or_b32 exec_lo, exec_lo, s5
	s_delay_alu instid0(SALU_CYCLE_1)
	s_and_not1_b32 vcc_lo, exec_lo, s18
	s_wait_alu 0xfffe
	s_cbranch_vccnz .LBB3_44
; %bb.43:                               ;   in Loop: Header=BB3_26 Depth=1
	global_load_b32 v51, v2, s[12:13]
	s_wait_loadcnt 0x0
	v_div_scale_f32 v54, null, v51, v51, v45
	s_delay_alu instid0(VALU_DEP_1) | instskip(NEXT) | instid1(TRANS32_DEP_1)
	v_rcp_f32_e32 v63, v54
	v_fma_f32 v64, -v54, v63, 1.0
	s_delay_alu instid0(VALU_DEP_1) | instskip(SKIP_1) | instid1(VALU_DEP_1)
	v_fmac_f32_e32 v63, v64, v63
	v_div_scale_f32 v64, vcc_lo, v45, v51, v45
	v_mul_f32_e32 v65, v64, v63
	s_delay_alu instid0(VALU_DEP_1) | instskip(NEXT) | instid1(VALU_DEP_1)
	v_fma_f32 v66, -v54, v65, v64
	v_fmac_f32_e32 v65, v66, v63
	s_delay_alu instid0(VALU_DEP_1) | instskip(SKIP_1) | instid1(VALU_DEP_1)
	v_fma_f32 v54, -v54, v65, v64
	s_wait_alu 0xfffd
	v_div_fmas_f32 v54, v54, v63, v65
	s_delay_alu instid0(VALU_DEP_1)
	v_div_fixup_f32 v45, v54, v51, v45
.LBB3_44:                               ;   in Loop: Header=BB3_26 Depth=1
	s_and_not1_b32 vcc_lo, exec_lo, s18
	s_wait_alu 0xfffe
	s_cbranch_vccnz .LBB3_46
; %bb.45:                               ;   in Loop: Header=BB3_26 Depth=1
	global_load_b32 v51, v2, s[12:13]
	s_wait_loadcnt 0x0
	v_div_scale_f32 v54, null, v51, v51, v46
	s_delay_alu instid0(VALU_DEP_1) | instskip(NEXT) | instid1(TRANS32_DEP_1)
	v_rcp_f32_e32 v63, v54
	v_fma_f32 v64, -v54, v63, 1.0
	s_delay_alu instid0(VALU_DEP_1) | instskip(SKIP_1) | instid1(VALU_DEP_1)
	v_fmac_f32_e32 v63, v64, v63
	v_div_scale_f32 v64, vcc_lo, v46, v51, v46
	v_mul_f32_e32 v65, v64, v63
	s_delay_alu instid0(VALU_DEP_1) | instskip(NEXT) | instid1(VALU_DEP_1)
	v_fma_f32 v66, -v54, v65, v64
	v_fmac_f32_e32 v65, v66, v63
	s_delay_alu instid0(VALU_DEP_1) | instskip(SKIP_1) | instid1(VALU_DEP_1)
	v_fma_f32 v54, -v54, v65, v64
	s_wait_alu 0xfffd
	v_div_fmas_f32 v54, v54, v63, v65
	s_delay_alu instid0(VALU_DEP_1)
	v_div_fixup_f32 v46, v54, v51, v46
.LBB3_46:                               ;   in Loop: Header=BB3_26 Depth=1
	;; [unrolled: 24-line block ×4, first 2 shown]
	v_cndmask_b32_e64 v51, v45, -v45, s33
	s_delay_alu instid0(VALU_DEP_1) | instskip(NEXT) | instid1(VALU_DEP_1)
	v_fma_f32 v54, v53, v23, v51
	v_cndmask_b32_e64 v51, v51, v54, s0
	s_delay_alu instid0(VALU_DEP_1) | instskip(NEXT) | instid1(VALU_DEP_1)
	v_fma_f32 v54, -v22, v51, v51
	v_dual_mul_f32 v63, v51, v51 :: v_dual_fmac_f32 v54, v22, v62
	s_delay_alu instid0(VALU_DEP_1) | instskip(NEXT) | instid1(VALU_DEP_1)
	v_fma_f32 v51, -v21, v63, v63
	v_fmac_f32_e32 v51, v21, v61
	s_and_saveexec_b32 s20, s1
	s_cbranch_execz .LBB3_52
; %bb.51:                               ;   in Loop: Header=BB3_26 Depth=1
	s_delay_alu instid0(VALU_DEP_1) | instskip(SKIP_2) | instid1(VALU_DEP_2)
	v_mul_f32_e32 v61, 0x4f800000, v51
	v_cmp_gt_f32_e32 vcc_lo, 0xf800000, v51
	s_wait_alu 0xfffd
	v_cndmask_b32_e32 v61, v51, v61, vcc_lo
	s_delay_alu instid0(VALU_DEP_1) | instskip(NEXT) | instid1(TRANS32_DEP_1)
	v_sqrt_f32_e32 v62, v61
	v_add_nc_u32_e32 v63, -1, v62
	v_add_nc_u32_e32 v64, 1, v62
	s_delay_alu instid0(VALU_DEP_2) | instskip(NEXT) | instid1(VALU_DEP_2)
	v_fma_f32 v65, -v63, v62, v61
	v_fma_f32 v66, -v64, v62, v61
	s_delay_alu instid0(VALU_DEP_2) | instskip(SKIP_1) | instid1(VALU_DEP_1)
	v_cmp_ge_f32_e64 s5, 0, v65
	s_wait_alu 0xf1ff
	v_cndmask_b32_e64 v62, v62, v63, s5
	s_delay_alu instid0(VALU_DEP_3) | instskip(SKIP_1) | instid1(VALU_DEP_1)
	v_cmp_lt_f32_e64 s5, 0, v66
	s_wait_alu 0xf1ff
	v_cndmask_b32_e64 v62, v62, v64, s5
	s_delay_alu instid0(VALU_DEP_1) | instskip(NEXT) | instid1(VALU_DEP_1)
	v_mul_f32_e32 v63, 0x37800000, v62
	v_cndmask_b32_e32 v62, v62, v63, vcc_lo
	v_cmp_class_f32_e64 vcc_lo, v61, 0x260
	s_wait_alu 0xfffd
	s_delay_alu instid0(VALU_DEP_2) | instskip(NEXT) | instid1(VALU_DEP_1)
	v_cndmask_b32_e32 v61, v62, v61, vcc_lo
	v_div_scale_f32 v62, null, s34, s34, v61
	v_div_scale_f32 v65, vcc_lo, v61, s34, v61
	s_delay_alu instid0(VALU_DEP_2) | instskip(NEXT) | instid1(TRANS32_DEP_1)
	v_rcp_f32_e32 v63, v62
	v_fma_f32 v64, -v62, v63, 1.0
	s_delay_alu instid0(VALU_DEP_1) | instskip(NEXT) | instid1(VALU_DEP_1)
	v_fmac_f32_e32 v63, v64, v63
	v_mul_f32_e32 v64, v65, v63
	s_delay_alu instid0(VALU_DEP_1) | instskip(NEXT) | instid1(VALU_DEP_1)
	v_fma_f32 v66, -v62, v64, v65
	v_fmac_f32_e32 v64, v66, v63
	s_delay_alu instid0(VALU_DEP_1) | instskip(SKIP_1) | instid1(VALU_DEP_1)
	v_fma_f32 v62, -v62, v64, v65
	s_wait_alu 0xfffd
	v_div_fmas_f32 v62, v62, v63, v64
	s_delay_alu instid0(VALU_DEP_1) | instskip(NEXT) | instid1(VALU_DEP_1)
	v_div_fixup_f32 v61, v62, s34, v61
	v_dual_mul_f32 v62, v11, v54 :: v_dual_add_f32 v61, v61, v24
	s_delay_alu instid0(VALU_DEP_1) | instskip(SKIP_1) | instid1(VALU_DEP_2)
	v_div_scale_f32 v63, null, v61, v61, v62
	v_div_scale_f32 v66, vcc_lo, v62, v61, v62
	v_rcp_f32_e32 v64, v63
	s_delay_alu instid0(TRANS32_DEP_1) | instskip(NEXT) | instid1(VALU_DEP_1)
	v_fma_f32 v65, -v63, v64, 1.0
	v_fmac_f32_e32 v64, v65, v64
	s_delay_alu instid0(VALU_DEP_1) | instskip(NEXT) | instid1(VALU_DEP_1)
	v_mul_f32_e32 v65, v66, v64
	v_fma_f32 v67, -v63, v65, v66
	s_delay_alu instid0(VALU_DEP_1) | instskip(NEXT) | instid1(VALU_DEP_1)
	v_fmac_f32_e32 v65, v67, v64
	v_fma_f32 v63, -v63, v65, v66
	s_wait_alu 0xfffd
	s_delay_alu instid0(VALU_DEP_1) | instskip(NEXT) | instid1(VALU_DEP_1)
	v_div_fmas_f32 v63, v63, v64, v65
	v_div_fixup_f32 v61, v63, v61, v62
	s_delay_alu instid0(VALU_DEP_1) | instskip(SKIP_3) | instid1(VALU_DEP_3)
	v_sub_f32_e32 v53, v53, v61
	v_add_co_u32 v61, vcc_lo, v3, s6
	s_wait_alu 0xfffd
	v_add_co_ci_u32_e64 v62, null, s7, v4, vcc_lo
	v_cvt_f16_f32_e32 v53, v53
	global_store_b16 v[61:62], v53, off
.LBB3_52:                               ;   in Loop: Header=BB3_26 Depth=1
	s_wait_alu 0xfffe
	s_or_b32 exec_lo, exec_lo, s20
	v_cndmask_b32_e64 v53, v46, -v46, s33
	s_delay_alu instid0(VALU_DEP_1) | instskip(NEXT) | instid1(VALU_DEP_1)
	v_fma_f32 v61, v52, v23, v53
	v_cndmask_b32_e64 v53, v53, v61, s0
	s_delay_alu instid0(VALU_DEP_1) | instskip(NEXT) | instid1(VALU_DEP_1)
	v_fma_f32 v61, -v22, v53, v53
	v_dual_mul_f32 v62, v53, v53 :: v_dual_fmac_f32 v61, v22, v60
	s_delay_alu instid0(VALU_DEP_1) | instskip(NEXT) | instid1(VALU_DEP_1)
	v_fma_f32 v53, -v21, v62, v62
	v_fmac_f32_e32 v53, v21, v59
	s_and_saveexec_b32 s20, s2
	s_cbranch_execz .LBB3_54
; %bb.53:                               ;   in Loop: Header=BB3_26 Depth=1
	s_delay_alu instid0(VALU_DEP_1) | instskip(SKIP_2) | instid1(VALU_DEP_2)
	v_mul_f32_e32 v59, 0x4f800000, v53
	v_cmp_gt_f32_e32 vcc_lo, 0xf800000, v53
	s_wait_alu 0xfffd
	v_cndmask_b32_e32 v59, v53, v59, vcc_lo
	s_delay_alu instid0(VALU_DEP_1) | instskip(NEXT) | instid1(TRANS32_DEP_1)
	v_sqrt_f32_e32 v60, v59
	v_add_nc_u32_e32 v62, -1, v60
	v_add_nc_u32_e32 v63, 1, v60
	s_delay_alu instid0(VALU_DEP_2) | instskip(NEXT) | instid1(VALU_DEP_2)
	v_fma_f32 v64, -v62, v60, v59
	v_fma_f32 v65, -v63, v60, v59
	s_delay_alu instid0(VALU_DEP_2) | instskip(SKIP_1) | instid1(VALU_DEP_1)
	v_cmp_ge_f32_e64 s5, 0, v64
	s_wait_alu 0xf1ff
	v_cndmask_b32_e64 v60, v60, v62, s5
	s_delay_alu instid0(VALU_DEP_3) | instskip(SKIP_1) | instid1(VALU_DEP_1)
	v_cmp_lt_f32_e64 s5, 0, v65
	s_wait_alu 0xf1ff
	v_cndmask_b32_e64 v60, v60, v63, s5
	s_delay_alu instid0(VALU_DEP_1) | instskip(NEXT) | instid1(VALU_DEP_1)
	v_mul_f32_e32 v62, 0x37800000, v60
	v_cndmask_b32_e32 v60, v60, v62, vcc_lo
	v_cmp_class_f32_e64 vcc_lo, v59, 0x260
	s_wait_alu 0xfffd
	s_delay_alu instid0(VALU_DEP_2) | instskip(NEXT) | instid1(VALU_DEP_1)
	v_cndmask_b32_e32 v59, v60, v59, vcc_lo
	v_div_scale_f32 v60, null, s34, s34, v59
	s_delay_alu instid0(VALU_DEP_1) | instskip(NEXT) | instid1(TRANS32_DEP_1)
	v_rcp_f32_e32 v62, v60
	v_fma_f32 v63, -v60, v62, 1.0
	s_delay_alu instid0(VALU_DEP_1) | instskip(SKIP_1) | instid1(VALU_DEP_1)
	v_fmac_f32_e32 v62, v63, v62
	v_div_scale_f32 v64, vcc_lo, v59, s34, v59
	v_mul_f32_e32 v63, v64, v62
	s_delay_alu instid0(VALU_DEP_1) | instskip(NEXT) | instid1(VALU_DEP_1)
	v_fma_f32 v65, -v60, v63, v64
	v_fmac_f32_e32 v63, v65, v62
	s_delay_alu instid0(VALU_DEP_1) | instskip(SKIP_1) | instid1(VALU_DEP_1)
	v_fma_f32 v60, -v60, v63, v64
	s_wait_alu 0xfffd
	v_div_fmas_f32 v60, v60, v62, v63
	s_delay_alu instid0(VALU_DEP_1) | instskip(SKIP_1) | instid1(VALU_DEP_2)
	v_div_fixup_f32 v59, v60, s34, v59
	v_mul_f32_e32 v60, v11, v61
	v_add_f32_e32 v59, v59, v24
	s_delay_alu instid0(VALU_DEP_1) | instskip(SKIP_1) | instid1(VALU_DEP_2)
	v_div_scale_f32 v62, null, v59, v59, v60
	v_div_scale_f32 v65, vcc_lo, v60, v59, v60
	v_rcp_f32_e32 v63, v62
	s_delay_alu instid0(TRANS32_DEP_1) | instskip(NEXT) | instid1(VALU_DEP_1)
	v_fma_f32 v64, -v62, v63, 1.0
	v_fmac_f32_e32 v63, v64, v63
	s_delay_alu instid0(VALU_DEP_1) | instskip(NEXT) | instid1(VALU_DEP_1)
	v_mul_f32_e32 v64, v65, v63
	v_fma_f32 v66, -v62, v64, v65
	s_delay_alu instid0(VALU_DEP_1) | instskip(NEXT) | instid1(VALU_DEP_1)
	v_fmac_f32_e32 v64, v66, v63
	v_fma_f32 v62, -v62, v64, v65
	s_wait_alu 0xfffd
	s_delay_alu instid0(VALU_DEP_1) | instskip(NEXT) | instid1(VALU_DEP_1)
	v_div_fmas_f32 v62, v62, v63, v64
	v_div_fixup_f32 v59, v62, v59, v60
	s_delay_alu instid0(VALU_DEP_1) | instskip(SKIP_3) | instid1(VALU_DEP_3)
	v_sub_f32_e32 v52, v52, v59
	v_add_co_u32 v59, vcc_lo, v37, s6
	s_wait_alu 0xfffd
	v_add_co_ci_u32_e64 v60, null, s7, v38, vcc_lo
	v_cvt_f16_f32_e32 v52, v52
	global_store_b16 v[59:60], v52, off
.LBB3_54:                               ;   in Loop: Header=BB3_26 Depth=1
	s_wait_alu 0xfffe
	s_or_b32 exec_lo, exec_lo, s20
	v_cndmask_b32_e64 v52, v47, -v47, s33
	s_delay_alu instid0(VALU_DEP_1) | instskip(NEXT) | instid1(VALU_DEP_1)
	v_fma_f32 v59, v50, v23, v52
	v_cndmask_b32_e64 v52, v52, v59, s0
	s_delay_alu instid0(VALU_DEP_1) | instskip(NEXT) | instid1(VALU_DEP_1)
	v_fma_f32 v59, -v22, v52, v52
	v_dual_mul_f32 v60, v52, v52 :: v_dual_fmac_f32 v59, v22, v58
	s_delay_alu instid0(VALU_DEP_1) | instskip(NEXT) | instid1(VALU_DEP_1)
	v_fma_f32 v52, -v21, v60, v60
	v_fmac_f32_e32 v52, v21, v57
	s_and_saveexec_b32 s20, s3
	s_cbranch_execz .LBB3_56
; %bb.55:                               ;   in Loop: Header=BB3_26 Depth=1
	s_delay_alu instid0(VALU_DEP_1) | instskip(SKIP_2) | instid1(VALU_DEP_2)
	v_mul_f32_e32 v57, 0x4f800000, v52
	v_cmp_gt_f32_e32 vcc_lo, 0xf800000, v52
	s_wait_alu 0xfffd
	v_cndmask_b32_e32 v57, v52, v57, vcc_lo
	s_delay_alu instid0(VALU_DEP_1) | instskip(NEXT) | instid1(TRANS32_DEP_1)
	v_sqrt_f32_e32 v58, v57
	v_add_nc_u32_e32 v60, -1, v58
	v_add_nc_u32_e32 v62, 1, v58
	s_delay_alu instid0(VALU_DEP_2) | instskip(NEXT) | instid1(VALU_DEP_2)
	v_fma_f32 v63, -v60, v58, v57
	v_fma_f32 v64, -v62, v58, v57
	s_delay_alu instid0(VALU_DEP_2) | instskip(SKIP_1) | instid1(VALU_DEP_1)
	v_cmp_ge_f32_e64 s5, 0, v63
	s_wait_alu 0xf1ff
	v_cndmask_b32_e64 v58, v58, v60, s5
	s_delay_alu instid0(VALU_DEP_3) | instskip(SKIP_1) | instid1(VALU_DEP_1)
	v_cmp_lt_f32_e64 s5, 0, v64
	s_wait_alu 0xf1ff
	v_cndmask_b32_e64 v58, v58, v62, s5
	s_delay_alu instid0(VALU_DEP_1) | instskip(NEXT) | instid1(VALU_DEP_1)
	v_mul_f32_e32 v60, 0x37800000, v58
	v_cndmask_b32_e32 v58, v58, v60, vcc_lo
	v_cmp_class_f32_e64 vcc_lo, v57, 0x260
	s_wait_alu 0xfffd
	s_delay_alu instid0(VALU_DEP_2) | instskip(NEXT) | instid1(VALU_DEP_1)
	v_cndmask_b32_e32 v57, v58, v57, vcc_lo
	v_div_scale_f32 v58, null, s34, s34, v57
	v_div_scale_f32 v63, vcc_lo, v57, s34, v57
	s_delay_alu instid0(VALU_DEP_2) | instskip(NEXT) | instid1(TRANS32_DEP_1)
	v_rcp_f32_e32 v60, v58
	v_fma_f32 v62, -v58, v60, 1.0
	s_delay_alu instid0(VALU_DEP_1) | instskip(NEXT) | instid1(VALU_DEP_1)
	v_fmac_f32_e32 v60, v62, v60
	v_mul_f32_e32 v62, v63, v60
	s_delay_alu instid0(VALU_DEP_1) | instskip(NEXT) | instid1(VALU_DEP_1)
	v_fma_f32 v64, -v58, v62, v63
	v_fmac_f32_e32 v62, v64, v60
	s_delay_alu instid0(VALU_DEP_1) | instskip(SKIP_1) | instid1(VALU_DEP_1)
	v_fma_f32 v58, -v58, v62, v63
	s_wait_alu 0xfffd
	v_div_fmas_f32 v58, v58, v60, v62
	s_delay_alu instid0(VALU_DEP_1) | instskip(NEXT) | instid1(VALU_DEP_1)
	v_div_fixup_f32 v57, v58, s34, v57
	v_dual_mul_f32 v58, v11, v59 :: v_dual_add_f32 v57, v57, v24
	s_delay_alu instid0(VALU_DEP_1) | instskip(SKIP_1) | instid1(VALU_DEP_2)
	v_div_scale_f32 v60, null, v57, v57, v58
	v_div_scale_f32 v64, vcc_lo, v58, v57, v58
	v_rcp_f32_e32 v62, v60
	s_delay_alu instid0(TRANS32_DEP_1) | instskip(NEXT) | instid1(VALU_DEP_1)
	v_fma_f32 v63, -v60, v62, 1.0
	v_fmac_f32_e32 v62, v63, v62
	s_delay_alu instid0(VALU_DEP_1) | instskip(NEXT) | instid1(VALU_DEP_1)
	v_mul_f32_e32 v63, v64, v62
	v_fma_f32 v65, -v60, v63, v64
	s_delay_alu instid0(VALU_DEP_1) | instskip(NEXT) | instid1(VALU_DEP_1)
	v_fmac_f32_e32 v63, v65, v62
	v_fma_f32 v60, -v60, v63, v64
	s_wait_alu 0xfffd
	s_delay_alu instid0(VALU_DEP_1) | instskip(NEXT) | instid1(VALU_DEP_1)
	v_div_fmas_f32 v60, v60, v62, v63
	v_div_fixup_f32 v57, v60, v57, v58
	s_delay_alu instid0(VALU_DEP_1) | instskip(SKIP_3) | instid1(VALU_DEP_3)
	v_sub_f32_e32 v50, v50, v57
	v_add_co_u32 v57, vcc_lo, v25, s6
	s_wait_alu 0xfffd
	v_add_co_ci_u32_e64 v58, null, s7, v26, vcc_lo
	v_cvt_f16_f32_e32 v50, v50
	global_store_b16 v[57:58], v50, off
.LBB3_56:                               ;   in Loop: Header=BB3_26 Depth=1
	s_wait_alu 0xfffe
	s_or_b32 exec_lo, exec_lo, s20
	v_cndmask_b32_e64 v50, v48, -v48, s33
	s_delay_alu instid0(VALU_DEP_1) | instskip(NEXT) | instid1(VALU_DEP_1)
	v_fma_f32 v57, v49, v23, v50
	v_cndmask_b32_e64 v50, v50, v57, s0
	s_delay_alu instid0(VALU_DEP_1) | instskip(SKIP_1) | instid1(VALU_DEP_2)
	v_mul_f32_e32 v58, v50, v50
	v_fma_f32 v57, -v22, v50, v50
	v_fma_f32 v50, -v21, v58, v58
	s_delay_alu instid0(VALU_DEP_1)
	v_dual_fmac_f32 v57, v22, v56 :: v_dual_fmac_f32 v50, v21, v55
	s_and_saveexec_b32 s20, s4
	s_cbranch_execz .LBB3_58
; %bb.57:                               ;   in Loop: Header=BB3_26 Depth=1
	s_delay_alu instid0(VALU_DEP_1) | instskip(SKIP_2) | instid1(VALU_DEP_2)
	v_mul_f32_e32 v55, 0x4f800000, v50
	v_cmp_gt_f32_e32 vcc_lo, 0xf800000, v50
	s_wait_alu 0xfffd
	v_cndmask_b32_e32 v55, v50, v55, vcc_lo
	s_delay_alu instid0(VALU_DEP_1) | instskip(NEXT) | instid1(TRANS32_DEP_1)
	v_sqrt_f32_e32 v56, v55
	v_add_nc_u32_e32 v58, -1, v56
	v_add_nc_u32_e32 v60, 1, v56
	s_delay_alu instid0(VALU_DEP_2) | instskip(NEXT) | instid1(VALU_DEP_2)
	v_fma_f32 v62, -v58, v56, v55
	v_fma_f32 v63, -v60, v56, v55
	s_delay_alu instid0(VALU_DEP_2) | instskip(SKIP_1) | instid1(VALU_DEP_1)
	v_cmp_ge_f32_e64 s5, 0, v62
	s_wait_alu 0xf1ff
	v_cndmask_b32_e64 v56, v56, v58, s5
	s_delay_alu instid0(VALU_DEP_3) | instskip(SKIP_1) | instid1(VALU_DEP_1)
	v_cmp_lt_f32_e64 s5, 0, v63
	s_wait_alu 0xf1ff
	v_cndmask_b32_e64 v56, v56, v60, s5
	s_delay_alu instid0(VALU_DEP_1) | instskip(NEXT) | instid1(VALU_DEP_1)
	v_mul_f32_e32 v58, 0x37800000, v56
	v_cndmask_b32_e32 v56, v56, v58, vcc_lo
	v_cmp_class_f32_e64 vcc_lo, v55, 0x260
	s_wait_alu 0xfffd
	s_delay_alu instid0(VALU_DEP_2) | instskip(NEXT) | instid1(VALU_DEP_1)
	v_cndmask_b32_e32 v55, v56, v55, vcc_lo
	v_div_scale_f32 v56, null, s34, s34, v55
	v_div_scale_f32 v62, vcc_lo, v55, s34, v55
	s_delay_alu instid0(VALU_DEP_2) | instskip(NEXT) | instid1(TRANS32_DEP_1)
	v_rcp_f32_e32 v58, v56
	v_fma_f32 v60, -v56, v58, 1.0
	s_delay_alu instid0(VALU_DEP_1) | instskip(NEXT) | instid1(VALU_DEP_1)
	v_fmac_f32_e32 v58, v60, v58
	v_mul_f32_e32 v60, v62, v58
	s_delay_alu instid0(VALU_DEP_1) | instskip(NEXT) | instid1(VALU_DEP_1)
	v_fma_f32 v63, -v56, v60, v62
	v_fmac_f32_e32 v60, v63, v58
	s_delay_alu instid0(VALU_DEP_1) | instskip(SKIP_1) | instid1(VALU_DEP_1)
	v_fma_f32 v56, -v56, v60, v62
	s_wait_alu 0xfffd
	v_div_fmas_f32 v56, v56, v58, v60
	s_delay_alu instid0(VALU_DEP_1) | instskip(SKIP_1) | instid1(VALU_DEP_2)
	v_div_fixup_f32 v55, v56, s34, v55
	v_mul_f32_e32 v56, v11, v57
	v_add_f32_e32 v55, v55, v24
	s_delay_alu instid0(VALU_DEP_1) | instskip(SKIP_1) | instid1(VALU_DEP_2)
	v_div_scale_f32 v58, null, v55, v55, v56
	v_div_scale_f32 v63, vcc_lo, v56, v55, v56
	v_rcp_f32_e32 v60, v58
	s_delay_alu instid0(TRANS32_DEP_1) | instskip(NEXT) | instid1(VALU_DEP_1)
	v_fma_f32 v62, -v58, v60, 1.0
	v_fmac_f32_e32 v60, v62, v60
	s_delay_alu instid0(VALU_DEP_1) | instskip(NEXT) | instid1(VALU_DEP_1)
	v_mul_f32_e32 v62, v63, v60
	v_fma_f32 v64, -v58, v62, v63
	s_delay_alu instid0(VALU_DEP_1) | instskip(NEXT) | instid1(VALU_DEP_1)
	v_fmac_f32_e32 v62, v64, v60
	v_fma_f32 v58, -v58, v62, v63
	s_wait_alu 0xfffd
	s_delay_alu instid0(VALU_DEP_1) | instskip(NEXT) | instid1(VALU_DEP_1)
	v_div_fmas_f32 v58, v58, v60, v62
	v_div_fixup_f32 v55, v58, v55, v56
	s_delay_alu instid0(VALU_DEP_1) | instskip(SKIP_3) | instid1(VALU_DEP_3)
	v_sub_f32_e32 v49, v49, v55
	v_add_co_u32 v55, vcc_lo, v12, s6
	s_wait_alu 0xfffd
	v_add_co_ci_u32_e64 v56, null, s7, v13, vcc_lo
	v_cvt_f16_f32_e32 v49, v49
	global_store_b16 v[55:56], v49, off
.LBB3_58:                               ;   in Loop: Header=BB3_26 Depth=1
	s_wait_alu 0xfffe
	s_or_b32 exec_lo, exec_lo, s20
	s_delay_alu instid0(SALU_CYCLE_1)
	s_and_not1_b32 vcc_lo, exec_lo, s18
	s_wait_alu 0xfffe
	s_cbranch_vccnz .LBB3_65
; %bb.59:                               ;   in Loop: Header=BB3_26 Depth=1
	s_and_saveexec_b32 s5, s1
	s_cbranch_execnz .LBB3_81
; %bb.60:                               ;   in Loop: Header=BB3_26 Depth=1
	s_wait_alu 0xfffe
	s_or_b32 exec_lo, exec_lo, s5
	s_and_saveexec_b32 s5, s2
	s_cbranch_execnz .LBB3_82
.LBB3_61:                               ;   in Loop: Header=BB3_26 Depth=1
	s_wait_alu 0xfffe
	s_or_b32 exec_lo, exec_lo, s5
	s_and_saveexec_b32 s5, s3
	s_cbranch_execnz .LBB3_83
.LBB3_62:                               ;   in Loop: Header=BB3_26 Depth=1
	s_wait_alu 0xfffe
	s_or_b32 exec_lo, exec_lo, s5
	s_and_saveexec_b32 s5, s4
	s_cbranch_execz .LBB3_64
.LBB3_63:                               ;   in Loop: Header=BB3_26 Depth=1
	v_add_co_u32 v45, vcc_lo, v14, s6
	v_cvt_f16_f32_e32 v47, v48
	s_wait_alu 0xfffd
	v_add_co_ci_u32_e64 v46, null, s7, v15, vcc_lo
	global_store_b16 v[45:46], v47, off
.LBB3_64:                               ;   in Loop: Header=BB3_26 Depth=1
	s_wait_alu 0xfffe
	s_or_b32 exec_lo, exec_lo, s5
.LBB3_65:                               ;   in Loop: Header=BB3_26 Depth=1
	s_and_saveexec_b32 s5, s1
	s_cbranch_execnz .LBB3_73
; %bb.66:                               ;   in Loop: Header=BB3_26 Depth=1
	s_wait_alu 0xfffe
	s_or_b32 exec_lo, exec_lo, s5
	s_and_saveexec_b32 s5, s2
	s_cbranch_execnz .LBB3_74
.LBB3_67:                               ;   in Loop: Header=BB3_26 Depth=1
	s_wait_alu 0xfffe
	s_or_b32 exec_lo, exec_lo, s5
	s_and_saveexec_b32 s5, s3
	s_cbranch_execnz .LBB3_75
.LBB3_68:                               ;   in Loop: Header=BB3_26 Depth=1
	s_wait_alu 0xfffe
	s_or_b32 exec_lo, exec_lo, s5
	s_and_saveexec_b32 s5, s4
	s_cbranch_execnz .LBB3_76
.LBB3_69:                               ;   in Loop: Header=BB3_26 Depth=1
	s_wait_alu 0xfffe
	s_or_b32 exec_lo, exec_lo, s5
	s_and_saveexec_b32 s5, s1
	s_cbranch_execnz .LBB3_77
.LBB3_70:                               ;   in Loop: Header=BB3_26 Depth=1
	s_wait_alu 0xfffe
	s_or_b32 exec_lo, exec_lo, s5
	s_and_saveexec_b32 s1, s2
	s_cbranch_execnz .LBB3_78
.LBB3_71:                               ;   in Loop: Header=BB3_26 Depth=1
	s_wait_alu 0xfffe
	s_or_b32 exec_lo, exec_lo, s1
	s_and_saveexec_b32 s1, s3
	s_cbranch_execnz .LBB3_79
.LBB3_72:                               ;   in Loop: Header=BB3_26 Depth=1
	s_wait_alu 0xfffe
	s_or_b32 exec_lo, exec_lo, s1
	s_and_saveexec_b32 s1, s4
	s_cbranch_execz .LBB3_25
	s_branch .LBB3_80
.LBB3_73:                               ;   in Loop: Header=BB3_26 Depth=1
	v_add_co_u32 v45, vcc_lo, v7, s6
	v_cvt_f16_f32_e32 v47, v54
	s_wait_alu 0xfffd
	v_add_co_ci_u32_e64 v46, null, s7, v8, vcc_lo
	global_store_b16 v[45:46], v47, off
	s_wait_alu 0xfffe
	s_or_b32 exec_lo, exec_lo, s5
	s_and_saveexec_b32 s5, s2
	s_cbranch_execz .LBB3_67
.LBB3_74:                               ;   in Loop: Header=BB3_26 Depth=1
	v_add_co_u32 v45, vcc_lo, v41, s6
	v_cvt_f16_f32_e32 v47, v61
	s_wait_alu 0xfffd
	v_add_co_ci_u32_e64 v46, null, s7, v42, vcc_lo
	global_store_b16 v[45:46], v47, off
	s_wait_alu 0xfffe
	s_or_b32 exec_lo, exec_lo, s5
	s_and_saveexec_b32 s5, s3
	s_cbranch_execz .LBB3_68
.LBB3_75:                               ;   in Loop: Header=BB3_26 Depth=1
	v_add_co_u32 v45, vcc_lo, v29, s6
	v_cvt_f16_f32_e32 v47, v59
	s_wait_alu 0xfffd
	v_add_co_ci_u32_e64 v46, null, s7, v30, vcc_lo
	global_store_b16 v[45:46], v47, off
	s_wait_alu 0xfffe
	s_or_b32 exec_lo, exec_lo, s5
	s_and_saveexec_b32 s5, s4
	s_cbranch_execz .LBB3_69
.LBB3_76:                               ;   in Loop: Header=BB3_26 Depth=1
	v_add_co_u32 v45, vcc_lo, v16, s6
	v_cvt_f16_f32_e32 v47, v57
	s_wait_alu 0xfffd
	v_add_co_ci_u32_e64 v46, null, s7, v17, vcc_lo
	global_store_b16 v[45:46], v47, off
	s_wait_alu 0xfffe
	s_or_b32 exec_lo, exec_lo, s5
	s_and_saveexec_b32 s5, s1
	s_cbranch_execz .LBB3_70
.LBB3_77:                               ;   in Loop: Header=BB3_26 Depth=1
	v_add_co_u32 v45, vcc_lo, v9, s6
	v_cvt_f16_f32_e32 v47, v51
	s_wait_alu 0xfffd
	v_add_co_ci_u32_e64 v46, null, s7, v10, vcc_lo
	global_store_b16 v[45:46], v47, off
	s_wait_alu 0xfffe
	s_or_b32 exec_lo, exec_lo, s5
	s_and_saveexec_b32 s1, s2
	s_cbranch_execz .LBB3_71
.LBB3_78:                               ;   in Loop: Header=BB3_26 Depth=1
	v_add_co_u32 v45, vcc_lo, v43, s6
	v_cvt_f16_f32_e32 v47, v53
	s_wait_alu 0xfffd
	v_add_co_ci_u32_e64 v46, null, s7, v44, vcc_lo
	global_store_b16 v[45:46], v47, off
	s_wait_alu 0xfffe
	s_or_b32 exec_lo, exec_lo, s1
	s_and_saveexec_b32 s1, s3
	s_cbranch_execz .LBB3_72
.LBB3_79:                               ;   in Loop: Header=BB3_26 Depth=1
	v_add_co_u32 v45, vcc_lo, v32, s6
	v_cvt_f16_f32_e32 v47, v52
	s_wait_alu 0xfffd
	v_add_co_ci_u32_e64 v46, null, s7, v33, vcc_lo
	global_store_b16 v[45:46], v47, off
	s_wait_alu 0xfffe
	s_or_b32 exec_lo, exec_lo, s1
	s_and_saveexec_b32 s1, s4
	s_cbranch_execz .LBB3_25
.LBB3_80:                               ;   in Loop: Header=BB3_26 Depth=1
	v_add_co_u32 v45, vcc_lo, v18, s6
	v_cvt_f16_f32_e32 v47, v50
	s_wait_alu 0xfffd
	v_add_co_ci_u32_e64 v46, null, s7, v19, vcc_lo
	global_store_b16 v[45:46], v47, off
	s_branch .LBB3_25
.LBB3_81:                               ;   in Loop: Header=BB3_26 Depth=1
	v_add_co_u32 v55, vcc_lo, v5, s6
	v_cvt_f16_f32_e32 v45, v45
	s_wait_alu 0xfffd
	v_add_co_ci_u32_e64 v56, null, s7, v6, vcc_lo
	global_store_b16 v[55:56], v45, off
	s_wait_alu 0xfffe
	s_or_b32 exec_lo, exec_lo, s5
	s_and_saveexec_b32 s5, s2
	s_cbranch_execz .LBB3_61
.LBB3_82:                               ;   in Loop: Header=BB3_26 Depth=1
	v_add_co_u32 v45, vcc_lo, v39, s6
	v_cvt_f16_f32_e32 v49, v46
	s_wait_alu 0xfffd
	v_add_co_ci_u32_e64 v46, null, s7, v40, vcc_lo
	global_store_b16 v[45:46], v49, off
	s_wait_alu 0xfffe
	s_or_b32 exec_lo, exec_lo, s5
	s_and_saveexec_b32 s5, s3
	s_cbranch_execz .LBB3_62
.LBB3_83:                               ;   in Loop: Header=BB3_26 Depth=1
	v_add_co_u32 v45, vcc_lo, v27, s6
	v_cvt_f16_f32_e32 v47, v47
	s_wait_alu 0xfffd
	v_add_co_ci_u32_e64 v46, null, s7, v28, vcc_lo
	global_store_b16 v[45:46], v47, off
	s_wait_alu 0xfffe
	s_or_b32 exec_lo, exec_lo, s5
	s_and_saveexec_b32 s5, s4
	s_cbranch_execnz .LBB3_63
	s_branch .LBB3_64
.LBB3_84:
	s_endpgm
	.section	.rodata,"a",@progbits
	.p2align	6, 0x0
	.amdhsa_kernel _ZN2at6native12_GLOBAL__N_125multi_tensor_apply_kernelINS1_32FusedOptimizerTensorListMetadataILi4EEENS1_20FusedAdamMathFunctorIN3c104HalfELi4ELNS0_9ADAM_MODEE0ELb0EEEJPKfdddddbSB_SB_EEEvT_T0_DpT1_
		.amdhsa_group_segment_fixed_size 0
		.amdhsa_private_segment_fixed_size 0
		.amdhsa_kernarg_size 3672
		.amdhsa_user_sgpr_count 2
		.amdhsa_user_sgpr_dispatch_ptr 0
		.amdhsa_user_sgpr_queue_ptr 0
		.amdhsa_user_sgpr_kernarg_segment_ptr 1
		.amdhsa_user_sgpr_dispatch_id 0
		.amdhsa_user_sgpr_private_segment_size 0
		.amdhsa_wavefront_size32 1
		.amdhsa_uses_dynamic_stack 0
		.amdhsa_enable_private_segment 0
		.amdhsa_system_sgpr_workgroup_id_x 1
		.amdhsa_system_sgpr_workgroup_id_y 0
		.amdhsa_system_sgpr_workgroup_id_z 0
		.amdhsa_system_sgpr_workgroup_info 0
		.amdhsa_system_vgpr_workitem_id 0
		.amdhsa_next_free_vgpr 68
		.amdhsa_next_free_sgpr 39
		.amdhsa_reserve_vcc 1
		.amdhsa_float_round_mode_32 0
		.amdhsa_float_round_mode_16_64 0
		.amdhsa_float_denorm_mode_32 3
		.amdhsa_float_denorm_mode_16_64 3
		.amdhsa_fp16_overflow 0
		.amdhsa_workgroup_processor_mode 1
		.amdhsa_memory_ordered 1
		.amdhsa_forward_progress 1
		.amdhsa_inst_pref_size 92
		.amdhsa_round_robin_scheduling 0
		.amdhsa_exception_fp_ieee_invalid_op 0
		.amdhsa_exception_fp_denorm_src 0
		.amdhsa_exception_fp_ieee_div_zero 0
		.amdhsa_exception_fp_ieee_overflow 0
		.amdhsa_exception_fp_ieee_underflow 0
		.amdhsa_exception_fp_ieee_inexact 0
		.amdhsa_exception_int_div_zero 0
	.end_amdhsa_kernel
	.section	.text._ZN2at6native12_GLOBAL__N_125multi_tensor_apply_kernelINS1_32FusedOptimizerTensorListMetadataILi4EEENS1_20FusedAdamMathFunctorIN3c104HalfELi4ELNS0_9ADAM_MODEE0ELb0EEEJPKfdddddbSB_SB_EEEvT_T0_DpT1_,"axG",@progbits,_ZN2at6native12_GLOBAL__N_125multi_tensor_apply_kernelINS1_32FusedOptimizerTensorListMetadataILi4EEENS1_20FusedAdamMathFunctorIN3c104HalfELi4ELNS0_9ADAM_MODEE0ELb0EEEJPKfdddddbSB_SB_EEEvT_T0_DpT1_,comdat
.Lfunc_end3:
	.size	_ZN2at6native12_GLOBAL__N_125multi_tensor_apply_kernelINS1_32FusedOptimizerTensorListMetadataILi4EEENS1_20FusedAdamMathFunctorIN3c104HalfELi4ELNS0_9ADAM_MODEE0ELb0EEEJPKfdddddbSB_SB_EEEvT_T0_DpT1_, .Lfunc_end3-_ZN2at6native12_GLOBAL__N_125multi_tensor_apply_kernelINS1_32FusedOptimizerTensorListMetadataILi4EEENS1_20FusedAdamMathFunctorIN3c104HalfELi4ELNS0_9ADAM_MODEE0ELb0EEEJPKfdddddbSB_SB_EEEvT_T0_DpT1_
                                        ; -- End function
	.set _ZN2at6native12_GLOBAL__N_125multi_tensor_apply_kernelINS1_32FusedOptimizerTensorListMetadataILi4EEENS1_20FusedAdamMathFunctorIN3c104HalfELi4ELNS0_9ADAM_MODEE0ELb0EEEJPKfdddddbSB_SB_EEEvT_T0_DpT1_.num_vgpr, 68
	.set _ZN2at6native12_GLOBAL__N_125multi_tensor_apply_kernelINS1_32FusedOptimizerTensorListMetadataILi4EEENS1_20FusedAdamMathFunctorIN3c104HalfELi4ELNS0_9ADAM_MODEE0ELb0EEEJPKfdddddbSB_SB_EEEvT_T0_DpT1_.num_agpr, 0
	.set _ZN2at6native12_GLOBAL__N_125multi_tensor_apply_kernelINS1_32FusedOptimizerTensorListMetadataILi4EEENS1_20FusedAdamMathFunctorIN3c104HalfELi4ELNS0_9ADAM_MODEE0ELb0EEEJPKfdddddbSB_SB_EEEvT_T0_DpT1_.numbered_sgpr, 39
	.set _ZN2at6native12_GLOBAL__N_125multi_tensor_apply_kernelINS1_32FusedOptimizerTensorListMetadataILi4EEENS1_20FusedAdamMathFunctorIN3c104HalfELi4ELNS0_9ADAM_MODEE0ELb0EEEJPKfdddddbSB_SB_EEEvT_T0_DpT1_.num_named_barrier, 0
	.set _ZN2at6native12_GLOBAL__N_125multi_tensor_apply_kernelINS1_32FusedOptimizerTensorListMetadataILi4EEENS1_20FusedAdamMathFunctorIN3c104HalfELi4ELNS0_9ADAM_MODEE0ELb0EEEJPKfdddddbSB_SB_EEEvT_T0_DpT1_.private_seg_size, 0
	.set _ZN2at6native12_GLOBAL__N_125multi_tensor_apply_kernelINS1_32FusedOptimizerTensorListMetadataILi4EEENS1_20FusedAdamMathFunctorIN3c104HalfELi4ELNS0_9ADAM_MODEE0ELb0EEEJPKfdddddbSB_SB_EEEvT_T0_DpT1_.uses_vcc, 1
	.set _ZN2at6native12_GLOBAL__N_125multi_tensor_apply_kernelINS1_32FusedOptimizerTensorListMetadataILi4EEENS1_20FusedAdamMathFunctorIN3c104HalfELi4ELNS0_9ADAM_MODEE0ELb0EEEJPKfdddddbSB_SB_EEEvT_T0_DpT1_.uses_flat_scratch, 0
	.set _ZN2at6native12_GLOBAL__N_125multi_tensor_apply_kernelINS1_32FusedOptimizerTensorListMetadataILi4EEENS1_20FusedAdamMathFunctorIN3c104HalfELi4ELNS0_9ADAM_MODEE0ELb0EEEJPKfdddddbSB_SB_EEEvT_T0_DpT1_.has_dyn_sized_stack, 0
	.set _ZN2at6native12_GLOBAL__N_125multi_tensor_apply_kernelINS1_32FusedOptimizerTensorListMetadataILi4EEENS1_20FusedAdamMathFunctorIN3c104HalfELi4ELNS0_9ADAM_MODEE0ELb0EEEJPKfdddddbSB_SB_EEEvT_T0_DpT1_.has_recursion, 0
	.set _ZN2at6native12_GLOBAL__N_125multi_tensor_apply_kernelINS1_32FusedOptimizerTensorListMetadataILi4EEENS1_20FusedAdamMathFunctorIN3c104HalfELi4ELNS0_9ADAM_MODEE0ELb0EEEJPKfdddddbSB_SB_EEEvT_T0_DpT1_.has_indirect_call, 0
	.section	.AMDGPU.csdata,"",@progbits
; Kernel info:
; codeLenInByte = 11652
; TotalNumSgprs: 41
; NumVgprs: 68
; ScratchSize: 0
; MemoryBound: 0
; FloatMode: 240
; IeeeMode: 1
; LDSByteSize: 0 bytes/workgroup (compile time only)
; SGPRBlocks: 0
; VGPRBlocks: 8
; NumSGPRsForWavesPerEU: 41
; NumVGPRsForWavesPerEU: 68
; Occupancy: 16
; WaveLimiterHint : 0
; COMPUTE_PGM_RSRC2:SCRATCH_EN: 0
; COMPUTE_PGM_RSRC2:USER_SGPR: 2
; COMPUTE_PGM_RSRC2:TRAP_HANDLER: 0
; COMPUTE_PGM_RSRC2:TGID_X_EN: 1
; COMPUTE_PGM_RSRC2:TGID_Y_EN: 0
; COMPUTE_PGM_RSRC2:TGID_Z_EN: 0
; COMPUTE_PGM_RSRC2:TIDIG_COMP_CNT: 0
	.section	.text._ZN2at6native12_GLOBAL__N_125multi_tensor_apply_kernelINS1_32FusedOptimizerTensorListMetadataILi4EEENS1_20FusedAdamMathFunctorIN3c108BFloat16ELi4ELNS0_9ADAM_MODEE0ELb0EEEJPKfdddddbSB_SB_EEEvT_T0_DpT1_,"axG",@progbits,_ZN2at6native12_GLOBAL__N_125multi_tensor_apply_kernelINS1_32FusedOptimizerTensorListMetadataILi4EEENS1_20FusedAdamMathFunctorIN3c108BFloat16ELi4ELNS0_9ADAM_MODEE0ELb0EEEJPKfdddddbSB_SB_EEEvT_T0_DpT1_,comdat
	.globl	_ZN2at6native12_GLOBAL__N_125multi_tensor_apply_kernelINS1_32FusedOptimizerTensorListMetadataILi4EEENS1_20FusedAdamMathFunctorIN3c108BFloat16ELi4ELNS0_9ADAM_MODEE0ELb0EEEJPKfdddddbSB_SB_EEEvT_T0_DpT1_ ; -- Begin function _ZN2at6native12_GLOBAL__N_125multi_tensor_apply_kernelINS1_32FusedOptimizerTensorListMetadataILi4EEENS1_20FusedAdamMathFunctorIN3c108BFloat16ELi4ELNS0_9ADAM_MODEE0ELb0EEEJPKfdddddbSB_SB_EEEvT_T0_DpT1_
	.p2align	8
	.type	_ZN2at6native12_GLOBAL__N_125multi_tensor_apply_kernelINS1_32FusedOptimizerTensorListMetadataILi4EEENS1_20FusedAdamMathFunctorIN3c108BFloat16ELi4ELNS0_9ADAM_MODEE0ELb0EEEJPKfdddddbSB_SB_EEEvT_T0_DpT1_,@function
_ZN2at6native12_GLOBAL__N_125multi_tensor_apply_kernelINS1_32FusedOptimizerTensorListMetadataILi4EEENS1_20FusedAdamMathFunctorIN3c108BFloat16ELi4ELNS0_9ADAM_MODEE0ELb0EEEJPKfdddddbSB_SB_EEEvT_T0_DpT1_: ; @_ZN2at6native12_GLOBAL__N_125multi_tensor_apply_kernelINS1_32FusedOptimizerTensorListMetadataILi4EEENS1_20FusedAdamMathFunctorIN3c108BFloat16ELi4ELNS0_9ADAM_MODEE0ELb0EEEJPKfdddddbSB_SB_EEEvT_T0_DpT1_
; %bb.0:
	v_mov_b32_e32 v1, ttmp9
	s_mov_b32 s3, 0
	global_load_u8 v1, v1, s[0:1] offset:1728
	s_clause 0x1
	s_load_b256 s[4:11], s[0:1], 0xd10
	s_load_b128 s[16:19], s[0:1], 0xd30
	s_wait_kmcnt 0x0
	s_cmp_eq_u64 s[4:5], 0
	s_wait_loadcnt 0x0
	v_readfirstlane_b32 s20, v1
	s_cbranch_scc1 .LBB4_28
; %bb.1:
	s_load_b32 s2, s[4:5], 0x0
	s_wait_kmcnt 0x0
	v_mov_b32_e32 v25, s2
	s_cbranch_execnz .LBB4_3
.LBB4_2:
	v_cvt_f32_f64_e32 v25, s[6:7]
.LBB4_3:
	s_load_b128 s[12:15], s[0:1], 0xd48
	s_wait_kmcnt 0x0
	s_cmp_eq_u64 s[14:15], 0
	s_cselect_b32 s2, -1, 0
	s_wait_alu 0xfffe
	s_and_b32 vcc_lo, exec_lo, s2
	s_cbranch_vccnz .LBB4_5
; %bb.4:
	s_load_b32 s2, s[14:15], 0x0
	s_wait_kmcnt 0x0
	s_cmp_neq_f32 s2, 1.0
	s_cselect_b32 s2, -1, 0
.LBB4_5:
	s_wait_alu 0xfffe
	s_and_not1_b32 vcc_lo, exec_lo, s2
	s_cbranch_vccnz .LBB4_100
; %bb.6:
	v_cvt_f32_f64_e32 v21, s[10:11]
	s_and_b32 s4, s20, 0xff
	v_cvt_f32_f64_e32 v22, s[8:9]
	s_lshl_b32 s10, s4, 3
	s_clause 0x2
	s_load_b64 s[6:7], s[0:1], s10 offset:0x5a0
	s_load_b32 s11, s[0:1], 0xd40
	s_load_b64 s[4:5], s[0:1], s10 offset:0x480
	s_mov_b32 s2, ttmp9
	v_cvt_f32_f64_e32 v23, s[16:17]
	v_cvt_f32_f64_e32 v24, s[18:19]
	s_wait_kmcnt 0x0
	s_load_b32 s14, s[6:7], 0x0
	s_delay_alu instid0(VALU_DEP_4)
	v_readfirstlane_b32 s6, v21
	s_cmp_neq_f32 s6, 1.0
	s_wait_kmcnt 0x0
	s_cselect_b32 s7, s14, 1.0
	s_wait_alu 0xfffe
	s_cmp_neq_f32 s7, 0
	s_cselect_b32 s6, s6, 1.0
	s_wait_alu 0xfffe
	v_frexp_mant_f32_e64 v1, |s6|
	s_delay_alu instid0(VALU_DEP_1) | instskip(SKIP_3) | instid1(SALU_CYCLE_1)
	v_readfirstlane_b32 s15, v1
	v_cvt_f64_f32_e64 v[1:2], |s6|
	s_cmp_lt_f32 s15, 0x3f2aaaab
	s_cselect_b32 s20, -1, 0
	s_and_b32 s21, s20, exec_lo
	s_cselect_b32 s21, 2.0, 1.0
	s_delay_alu instid0(SALU_CYCLE_1) | instskip(NEXT) | instid1(SALU_CYCLE_3)
	s_mul_f32 s15, s15, s21
	s_add_f32 s21, s15, 1.0
	s_add_f32 s23, s15, -1.0
	s_delay_alu instid0(SALU_CYCLE_2) | instskip(SKIP_1) | instid1(SALU_CYCLE_3)
	v_s_rcp_f32 s22, s21
	s_add_f32 s26, s21, -1.0
	s_sub_f32 s15, s15, s26
	s_delay_alu instid0(TRANS32_DEP_1) | instskip(NEXT) | instid1(SALU_CYCLE_3)
	s_mul_f32 s24, s23, s22
	s_mul_f32 s25, s21, s24
	s_delay_alu instid0(SALU_CYCLE_3) | instskip(NEXT) | instid1(VALU_DEP_1)
	s_xor_b32 s27, s25, 0x80000000
	v_frexp_exp_i32_f64_e32 v1, v[1:2]
	s_fmac_f32 s27, s24, s21
	s_delay_alu instid0(SALU_CYCLE_3) | instskip(NEXT) | instid1(SALU_CYCLE_3)
	s_fmac_f32 s27, s24, s15
	s_add_f32 s15, s25, s27
	s_delay_alu instid0(SALU_CYCLE_3) | instskip(SKIP_2) | instid1(SALU_CYCLE_1)
	s_sub_f32 s21, s23, s15
	s_sub_f32 s25, s15, s25
	s_wait_alu 0xfffe
	s_sub_f32 s23, s23, s21
	s_delay_alu instid0(SALU_CYCLE_1) | instskip(NEXT) | instid1(SALU_CYCLE_2)
	s_sub_f32 s25, s25, s27
	s_sub_f32 s15, s23, s15
	s_delay_alu instid0(SALU_CYCLE_3) | instskip(NEXT) | instid1(SALU_CYCLE_3)
	s_add_f32 s15, s25, s15
	s_add_f32 s15, s21, s15
	s_delay_alu instid0(SALU_CYCLE_3) | instskip(NEXT) | instid1(SALU_CYCLE_3)
	s_mul_f32 s15, s22, s15
	s_add_f32 s21, s24, s15
	s_wait_alu 0xfffe
	s_delay_alu instid0(SALU_CYCLE_2) | instskip(SKIP_1) | instid1(SALU_CYCLE_2)
	s_sub_f32 s22, s21, s24
	s_mul_f32 s23, s21, s21
	s_sub_f32 s22, s15, s22
	s_delay_alu instid0(SALU_CYCLE_2) | instskip(NEXT) | instid1(SALU_CYCLE_1)
	s_xor_b32 s24, s23, 0x80000000
	s_fmac_f32 s24, s21, s21
	s_delay_alu instid0(SALU_CYCLE_1) | instskip(NEXT) | instid1(SALU_CYCLE_3)
	s_add_f32 s15, s22, s22
	s_fmac_f32 s24, s21, s15
	s_mov_b32 s15, 0x3e76c4e1
	s_delay_alu instid0(SALU_CYCLE_2) | instskip(NEXT) | instid1(SALU_CYCLE_3)
	s_add_f32 s25, s23, s24
	s_fmaak_f32 s26, s25, s15, 0x3e91f4c4
	s_sub_f32 s23, s25, s23
	s_delay_alu instid0(SALU_CYCLE_2) | instskip(NEXT) | instid1(SALU_CYCLE_2)
	s_fmaak_f32 s26, s25, s26, 0x3ecccdef
	s_sub_f32 s23, s24, s23
	s_mul_f32 s24, s21, s25
	s_delay_alu instid0(SALU_CYCLE_1) | instskip(NEXT) | instid1(SALU_CYCLE_2)
	s_mul_f32 s27, s25, s26
	s_xor_b32 s29, s24, 0x80000000
	s_delay_alu instid0(SALU_CYCLE_2) | instskip(SKIP_2) | instid1(SALU_CYCLE_2)
	s_xor_b32 s28, s27, 0x80000000
	s_fmac_f32 s29, s25, s21
	s_fmac_f32 s28, s25, s26
	;; [unrolled: 1-line block ×3, first 2 shown]
	s_delay_alu instid0(SALU_CYCLE_2) | instskip(NEXT) | instid1(SALU_CYCLE_2)
	s_fmac_f32 s28, s23, s26
	s_fmac_f32 s29, s23, s21
	s_delay_alu instid0(SALU_CYCLE_2) | instskip(NEXT) | instid1(SALU_CYCLE_3)
	s_add_f32 s26, s27, s28
	s_sub_f32 s27, s26, s27
	s_add_f32 s30, s26, 0x3f2aaaaa
	s_delay_alu instid0(SALU_CYCLE_2) | instskip(NEXT) | instid1(SALU_CYCLE_2)
	s_sub_f32 s27, s28, s27
	s_add_f32 s28, s30, 0xbf2aaaaa
	s_delay_alu instid0(SALU_CYCLE_2) | instskip(NEXT) | instid1(SALU_CYCLE_2)
	s_add_f32 s25, s27, 0x31739010
	s_sub_f32 s26, s26, s28
	s_delay_alu instid0(SALU_CYCLE_3) | instskip(SKIP_1) | instid1(SALU_CYCLE_2)
	s_add_f32 s23, s25, s26
	s_add_f32 s25, s24, s29
	;; [unrolled: 1-line block ×3, first 2 shown]
	s_delay_alu instid0(SALU_CYCLE_2) | instskip(NEXT) | instid1(SALU_CYCLE_2)
	s_sub_f32 s24, s25, s24
	s_mul_f32 s27, s25, s26
	s_sub_f32 s28, s30, s26
	s_delay_alu instid0(SALU_CYCLE_1) | instskip(NEXT) | instid1(SALU_CYCLE_1)
	s_sub_f32 s24, s29, s24
	s_xor_b32 s30, s27, 0x80000000
	s_delay_alu instid0(SALU_CYCLE_1)
	s_add_f32 s23, s23, s28
	s_fmac_f32 s30, s25, s26
	v_readfirstlane_b32 s28, v1
	v_ldexp_f32 v1, s21, 1
	s_cmp_lg_u32 s20, 0
	s_fmac_f32 s30, s25, s23
	s_sub_co_ci_u32 s20, s28, 0
	s_delay_alu instid0(VALU_DEP_1) | instskip(NEXT) | instid1(SALU_CYCLE_1)
	v_readfirstlane_b32 s21, v1
	s_fmac_f32 s30, s24, s26
	s_wait_alu 0xfffe
	s_cvt_f32_i32 s20, s20
	v_ldexp_f32 v1, s22, 1
	s_add_f32 s23, s27, s30
	s_wait_alu 0xfffe
	s_mul_f32 s22, s20, 0x3f317218
	s_delay_alu instid0(VALU_DEP_1)
	v_readfirstlane_b32 s26, v1
	s_add_f32 s24, s21, s23
	s_sub_f32 s25, s23, s27
	s_wait_alu 0xfffe
	s_xor_b32 s27, s22, 0x80000000
	s_sub_f32 s21, s24, s21
	s_sub_f32 s25, s30, s25
	s_fmamk_f32 s27, s20, 0x3f317218, s27
	s_wait_alu 0xfffe
	s_sub_f32 s21, s23, s21
	s_add_f32 s23, s26, s25
	s_fmamk_f32 s20, s20, 0xb102e308, s27
	s_wait_alu 0xfffe
	s_delay_alu instid0(SALU_CYCLE_1) | instskip(NEXT) | instid1(SALU_CYCLE_1)
	s_add_f32 s21, s23, s21
	s_add_f32 s23, s22, s20
	s_wait_alu 0xfffe
	s_delay_alu instid0(SALU_CYCLE_1) | instskip(NEXT) | instid1(SALU_CYCLE_1)
	s_add_f32 s25, s24, s21
	s_sub_f32 s22, s23, s22
	s_delay_alu instid0(SALU_CYCLE_2)
	s_add_f32 s26, s23, s25
	s_sub_f32 s24, s25, s24
	s_wait_alu 0xfffe
	s_sub_f32 s20, s20, s22
	s_sub_f32 s27, s26, s23
	;; [unrolled: 1-line block ×3, first 2 shown]
	s_delay_alu instid0(SALU_CYCLE_2)
	s_sub_f32 s28, s26, s27
	s_sub_f32 s22, s25, s27
	s_wait_alu 0xfffe
	s_add_f32 s24, s20, s21
	s_sub_f32 s23, s23, s28
	s_wait_alu 0xfffe
	s_delay_alu instid0(SALU_CYCLE_2) | instskip(SKIP_2) | instid1(SALU_CYCLE_1)
	s_add_f32 s22, s22, s23
	s_sub_f32 s23, s24, s20
	s_wait_alu 0xfffe
	s_add_f32 s22, s24, s22
	s_delay_alu instid0(SALU_CYCLE_1) | instskip(SKIP_4) | instid1(SALU_CYCLE_2)
	s_sub_f32 s24, s24, s23
	s_sub_f32 s21, s21, s23
	s_wait_alu 0xfffe
	s_add_f32 s25, s26, s22
	s_sub_f32 s20, s20, s24
	s_sub_f32 s23, s25, s26
	s_wait_alu 0xfffe
	s_delay_alu instid0(SALU_CYCLE_1) | instskip(NEXT) | instid1(SALU_CYCLE_1)
	s_add_f32 s20, s21, s20
	s_sub_f32 s21, s22, s23
	s_wait_alu 0xfffe
	s_delay_alu instid0(SALU_CYCLE_2) | instskip(SKIP_1) | instid1(SALU_CYCLE_2)
	s_add_f32 s20, s20, s21
	s_wait_alu 0xfffe
	s_add_f32 s21, s25, s20
	s_wait_alu 0xfffe
	s_delay_alu instid0(SALU_CYCLE_2) | instskip(SKIP_2) | instid1(SALU_CYCLE_1)
	s_mul_f32 s22, s7, s21
	s_sub_f32 s23, s21, s25
	s_wait_alu 0xfffe
	s_xor_b32 s24, s22, 0x80000000
	s_delay_alu instid0(SALU_CYCLE_1) | instskip(SKIP_2) | instid1(SALU_CYCLE_2)
	s_sub_f32 s20, s20, s23
	s_fmac_f32 s24, s7, s21
	s_wait_alu 0xfffe
	s_fmac_f32 s24, s7, s20
	v_cmp_class_f32_e64 s20, s22, 0x204
	s_delay_alu instid0(SALU_CYCLE_2) | instskip(SKIP_2) | instid1(SALU_CYCLE_1)
	s_add_f32 s21, s22, s24
	s_and_b32 s20, s20, exec_lo
	s_wait_alu 0xfffe
	s_sub_f32 s20, s21, s22
	s_cselect_b32 s21, s22, s21
	s_wait_alu 0xfffe
	s_and_b32 s22, s21, 0x7fffffff
	s_sub_f32 s20, s24, s20
	s_wait_alu 0xfffe
	s_cmp_neq_f32 s22, 0x7f800000
	s_delay_alu instid0(SALU_CYCLE_1)
	s_cselect_b32 s20, s20, 0
	s_cmp_eq_f32 s21, 0x42b17218
	s_cselect_b32 s22, 0x37000000, 0
	s_wait_alu 0xfffe
	s_sub_f32 s21, s21, s22
	s_add_f32 s20, s22, s20
	s_wait_alu 0xfffe
	s_delay_alu instid0(SALU_CYCLE_1) | instskip(SKIP_1) | instid1(SALU_CYCLE_2)
	s_mul_f32 s23, s21, 0x3fb8aa3b
	s_wait_alu 0xfffe
	s_xor_b32 s24, s23, 0x80000000
	s_rndne_f32 s25, s23
	s_fmamk_f32 s24, s21, 0x3fb8aa3b, s24
	s_cmp_nlt_f32 s21, 0xc2ce8ed0
	s_delay_alu instid0(SALU_CYCLE_1) | instskip(NEXT) | instid1(SALU_CYCLE_1)
	s_sub_f32 s23, s23, s25
	s_fmamk_f32 s24, s21, 0x32a5705f, s24
	s_cselect_b32 vcc_lo, -1, 0
	s_cmp_ngt_f32 s21, 0x42b17218
	s_trunc_f32 s21, s7
	s_wait_alu 0xfffe
	s_add_f32 s23, s23, s24
	s_cvt_i32_f32 s24, s25
	s_wait_alu 0xfffe
	s_delay_alu instid0(SALU_CYCLE_1) | instskip(SKIP_1) | instid1(TRANS32_DEP_1)
	v_s_exp_f32 s23, s23
	s_wait_alu 0xf1ff
	v_ldexp_f32 v1, s23, s24
	s_mul_f32 s23, s7, 0.5
	s_delay_alu instid0(VALU_DEP_1)
	v_cndmask_b32_e32 v1, 0, v1, vcc_lo
	s_cselect_b32 vcc_lo, -1, 0
	s_cmp_eq_f32 s21, s7
	s_wait_alu 0xfffe
	s_trunc_f32 s24, s23
	v_cndmask_b32_e32 v1, 0x7f800000, v1, vcc_lo
	s_cselect_b32 s22, -1, 0
	s_wait_alu 0xfffe
	s_cmp_neq_f32 s24, s23
	s_delay_alu instid0(VALU_DEP_1)
	v_fma_f32 v2, s20, v1, v1
	v_cmp_class_f32_e64 vcc_lo, v1, 0x204
	s_cselect_b32 s20, -1, 0
	s_wait_alu 0xfffe
	s_and_b32 s20, s22, s20
	s_wait_alu 0xfffd
	v_cndmask_b32_e32 v1, v2, v1, vcc_lo
	s_wait_alu 0xfffe
	s_and_b32 s22, s20, exec_lo
	s_cselect_b32 s22, s6, 1.0
	s_cmp_eq_f32 s21, s7
	s_wait_alu 0xfffe
	v_bfi_b32 v1, 0x7fffffff, v1, s22
	s_cselect_b32 s22, -1, 0
	s_wait_alu 0xfffe
	s_and_b32 s22, s22, exec_lo
	s_delay_alu instid0(VALU_DEP_1)
	v_readfirstlane_b32 s21, v1
	s_cselect_b32 s22, s21, 0x7fc00000
	s_and_b32 s23, s6, 0x7fffffff
	s_cmp_lt_f32 s6, 0
	s_wait_alu 0xfffe
	s_cselect_b32 s21, s22, s21
	s_and_b32 s22, s7, 0x7fffffff
	s_wait_alu 0xfffe
	s_cmp_neq_f32 s7, s22
	s_cselect_b32 s22, -1, 0
	s_cmp_lt_f32 s23, 1.0
	s_cselect_b32 s24, -1, 0
	s_wait_alu 0xfffe
	s_xor_b32 s22, s22, s24
	v_cmp_class_f32_e64 s24, s7, 0x204
	s_wait_alu 0xfffe
	s_and_b32 s22, s22, exec_lo
	s_cselect_b32 s22, 0, 0x7f800000
	s_cmp_neq_f32 s23, 1.0
	s_wait_alu 0xfffe
	s_cselect_b32 s22, s22, 1.0
	s_and_b32 s23, s24, exec_lo
	s_wait_alu 0xfffe
	s_cselect_b32 s21, s22, s21
	s_cmp_eq_f32 s6, 0
	v_cmp_class_f32_e64 s22, s6, 0x204
	s_cselect_b32 s23, -1, 0
	s_wait_alu 0xfffe
	s_or_b32 s22, s23, s22
	s_cmp_lt_f32 s7, 0
	s_cselect_b32 s24, -1, 0
	s_wait_alu 0xfffe
	s_xor_b32 s23, s24, s23
	s_wait_alu 0xfffe
	s_and_b32 s23, s23, exec_lo
	s_cselect_b32 s23, 0, 0x7f800000
	s_and_b32 s20, s20, exec_lo
	s_cselect_b32 s20, s6, 0
	s_and_b32 s22, s22, exec_lo
	s_wait_alu 0xfffe
	v_mov_b32_e32 v1, s20
	s_delay_alu instid0(VALU_DEP_1) | instskip(NEXT) | instid1(VALU_DEP_1)
	v_bfi_b32 v1, 0x7fffffff, s23, v1
	v_readfirstlane_b32 s20, v1
	s_cselect_b32 s20, s20, s21
	s_cmp_o_f32 s6, s7
	s_wait_alu 0xfffe
	s_sub_f32 s6, 1.0, s20
	s_wait_alu 0xfffe
	s_delay_alu instid0(SALU_CYCLE_2) | instskip(SKIP_4) | instid1(SALU_CYCLE_1)
	s_cselect_b32 s7, s6, 0x7fc00000
	s_wait_alu 0xfffe
	s_mul_f32 s6, s7, 0x4f800000
	s_cmp_lt_f32 s7, 0xf800000
	s_wait_alu 0xfffe
	s_cselect_b32 s6, s6, s7
	s_wait_alu 0xfffe
	v_s_sqrt_f32 s8, s6
	s_mov_b32 s20, s6
	s_delay_alu instid0(TRANS32_DEP_1)
	s_add_co_i32 s9, s8, -1
	s_wait_alu 0xfffe
	s_xor_b32 s21, s9, 0x80000000
	s_wait_alu 0xfffe
	s_fmac_f32 s20, s21, s8
	s_mov_b32 s21, s6
	s_wait_alu 0xfffe
	s_delay_alu instid0(SALU_CYCLE_1)
	s_cmp_le_f32 s20, 0
	s_cselect_b32 s9, s9, s8
	s_add_co_i32 s20, s8, 1
	s_wait_alu 0xfffe
	s_xor_b32 s22, s20, 0x80000000
	s_wait_alu 0xfffe
	s_fmac_f32 s21, s22, s8
	s_wait_alu 0xfffe
	s_delay_alu instid0(SALU_CYCLE_2)
	s_cmp_gt_f32 s21, 0
	v_readfirstlane_b32 s21, v22
	s_cselect_b32 s8, s20, s9
	s_cmp_lt_f32 s7, 0xf800000
	s_wait_alu 0xfffe
	s_mul_f32 s7, s8, 0x37800000
	s_wait_alu 0xfffe
	s_delay_alu instid0(SALU_CYCLE_2)
	s_cselect_b32 s7, s7, s8
	s_cmp_neq_f32 s21, 1.0
	s_cselect_b32 s8, s14, 1.0
	s_wait_alu 0xfffe
	s_cmp_neq_f32 s8, 0
	s_cselect_b32 s9, s21, 1.0
	s_wait_alu 0xfffe
	v_frexp_mant_f32_e64 v1, |s9|
	s_delay_alu instid0(VALU_DEP_1)
	v_readfirstlane_b32 s14, v1
	v_cvt_f64_f32_e64 v[1:2], |s9|
	s_cmp_lt_f32 s14, 0x3f2aaaab
	s_cselect_b32 s20, -1, 0
	s_wait_alu 0xfffe
	s_and_b32 s21, s20, exec_lo
	s_cselect_b32 s21, 2.0, 1.0
	s_wait_alu 0xfffe
	s_mul_f32 s14, s14, s21
	s_delay_alu instid0(SALU_CYCLE_3) | instskip(SKIP_2) | instid1(SALU_CYCLE_1)
	s_add_f32 s21, s14, 1.0
	s_add_f32 s23, s14, -1.0
	s_wait_alu 0xfffe
	v_s_rcp_f32 s22, s21
	s_add_f32 s26, s21, -1.0
	s_delay_alu instid0(SALU_CYCLE_3) | instskip(NEXT) | instid1(TRANS32_DEP_1)
	s_sub_f32 s14, s14, s26
	s_mul_f32 s24, s23, s22
	s_wait_alu 0xfffe
	s_delay_alu instid0(SALU_CYCLE_2) | instskip(SKIP_1) | instid1(SALU_CYCLE_2)
	s_mul_f32 s25, s21, s24
	s_wait_alu 0xfffe
	s_xor_b32 s27, s25, 0x80000000
	s_delay_alu instid0(SALU_CYCLE_1) | instskip(NEXT) | instid1(VALU_DEP_1)
	s_fmac_f32 s27, s24, s21
	v_frexp_exp_i32_f64_e32 v1, v[1:2]
	s_delay_alu instid0(SALU_CYCLE_2) | instskip(NEXT) | instid1(SALU_CYCLE_3)
	s_fmac_f32 s27, s24, s14
	s_add_f32 s14, s25, s27
	s_delay_alu instid0(SALU_CYCLE_3) | instskip(SKIP_2) | instid1(SALU_CYCLE_1)
	s_sub_f32 s21, s23, s14
	s_sub_f32 s25, s14, s25
	s_wait_alu 0xfffe
	s_sub_f32 s23, s23, s21
	s_delay_alu instid0(SALU_CYCLE_1) | instskip(SKIP_1) | instid1(SALU_CYCLE_1)
	s_sub_f32 s25, s25, s27
	s_wait_alu 0xfffe
	s_sub_f32 s14, s23, s14
	s_delay_alu instid0(SALU_CYCLE_3) | instskip(NEXT) | instid1(SALU_CYCLE_3)
	s_add_f32 s14, s25, s14
	s_add_f32 s14, s21, s14
	s_delay_alu instid0(SALU_CYCLE_3) | instskip(NEXT) | instid1(SALU_CYCLE_3)
	s_mul_f32 s14, s22, s14
	s_add_f32 s21, s24, s14
	s_wait_alu 0xfffe
	s_delay_alu instid0(SALU_CYCLE_2) | instskip(SKIP_2) | instid1(SALU_CYCLE_1)
	s_sub_f32 s22, s21, s24
	s_mul_f32 s23, s21, s21
	s_wait_alu 0xfffe
	s_sub_f32 s14, s14, s22
	s_delay_alu instid0(SALU_CYCLE_1) | instskip(SKIP_4) | instid1(SALU_CYCLE_2)
	s_xor_b32 s22, s23, 0x80000000
	s_wait_alu 0xfffe
	s_fmac_f32 s22, s21, s21
	s_add_f32 s24, s14, s14
	s_wait_alu 0xfffe
	s_fmac_f32 s22, s21, s24
	s_wait_alu 0xfffe
	s_delay_alu instid0(SALU_CYCLE_2) | instskip(SKIP_1) | instid1(SALU_CYCLE_2)
	s_add_f32 s24, s23, s22
	s_wait_alu 0xfffe
	s_fmaak_f32 s15, s24, s15, 0x3e91f4c4
	s_sub_f32 s23, s24, s23
	s_delay_alu instid0(SALU_CYCLE_2) | instskip(SKIP_1) | instid1(SALU_CYCLE_1)
	s_fmaak_f32 s15, s24, s15, 0x3ecccdef
	s_wait_alu 0xfffe
	s_sub_f32 s22, s22, s23
	s_delay_alu instid0(SALU_CYCLE_1) | instskip(SKIP_1) | instid1(SALU_CYCLE_2)
	s_mul_f32 s25, s24, s15
	s_wait_alu 0xfffe
	s_xor_b32 s26, s25, 0x80000000
	s_delay_alu instid0(SALU_CYCLE_1) | instskip(NEXT) | instid1(SALU_CYCLE_3)
	s_fmac_f32 s26, s24, s15
	s_fmac_f32 s26, s22, s15
	s_mul_f32 s15, s21, s24
	s_delay_alu instid0(SALU_CYCLE_2) | instskip(NEXT) | instid1(SALU_CYCLE_2)
	s_add_f32 s23, s25, s26
	s_xor_b32 s27, s15, 0x80000000
	s_delay_alu instid0(SALU_CYCLE_1)
	s_fmac_f32 s27, s24, s21
	s_wait_alu 0xfffe
	s_sub_f32 s25, s23, s25
	s_add_f32 s28, s23, 0x3f2aaaaa
	s_fmac_f32 s27, s24, s14
	s_wait_alu 0xfffe
	s_sub_f32 s25, s26, s25
	s_add_f32 s26, s28, 0xbf2aaaaa
	s_fmac_f32 s27, s22, s21
	s_wait_alu 0xfffe
	s_add_f32 s24, s25, 0x31739010
	s_sub_f32 s23, s23, s26
	s_wait_alu 0xfffe
	s_delay_alu instid0(SALU_CYCLE_2) | instskip(SKIP_2) | instid1(SALU_CYCLE_1)
	s_add_f32 s22, s24, s23
	s_add_f32 s23, s15, s27
	s_wait_alu 0xfffe
	s_add_f32 s24, s28, s22
	s_delay_alu instid0(SALU_CYCLE_1) | instskip(SKIP_1) | instid1(SALU_CYCLE_1)
	s_sub_f32 s15, s23, s15
	s_wait_alu 0xfffe
	s_mul_f32 s25, s23, s24
	s_sub_f32 s26, s28, s24
	s_sub_f32 s15, s27, s15
	s_wait_alu 0xfffe
	s_xor_b32 s28, s25, 0x80000000
	s_add_f32 s22, s22, s26
	s_fmac_f32 s28, s23, s24
	v_readfirstlane_b32 s26, v1
	v_ldexp_f32 v1, s21, 1
	s_cmp_lg_u32 s20, 0
	s_wait_alu 0xfffe
	s_fmac_f32 s28, s23, s22
	s_delay_alu instid0(VALU_DEP_1) | instskip(NEXT) | instid1(SALU_CYCLE_2)
	v_readfirstlane_b32 s20, v1
	s_fmac_f32 s28, s15, s24
	s_sub_co_ci_u32 s15, s26, 0
	v_ldexp_f32 v1, s14, 1
	s_cvt_f32_i32 s15, s15
	s_add_f32 s21, s25, s28
	s_wait_alu 0xfffe
	s_delay_alu instid0(SALU_CYCLE_1) | instskip(NEXT) | instid1(SALU_CYCLE_1)
	s_mul_f32 s14, s15, 0x3f317218
	s_add_f32 s22, s20, s21
	s_sub_f32 s23, s21, s25
	v_readfirstlane_b32 s24, v1
	s_wait_alu 0xfffe
	s_xor_b32 s25, s14, 0x80000000
	s_sub_f32 s20, s22, s20
	s_sub_f32 s23, s28, s23
	s_wait_alu 0xfffe
	s_fmamk_f32 s25, s15, 0x3f317218, s25
	s_sub_f32 s20, s21, s20
	s_add_f32 s21, s24, s23
	s_wait_alu 0xfffe
	s_fmamk_f32 s15, s15, 0xb102e308, s25
	s_delay_alu instid0(SALU_CYCLE_1) | instskip(SKIP_1) | instid1(SALU_CYCLE_1)
	s_add_f32 s20, s21, s20
	s_wait_alu 0xfffe
	s_add_f32 s21, s14, s15
	s_delay_alu instid0(SALU_CYCLE_1) | instskip(SKIP_1) | instid1(SALU_CYCLE_1)
	s_add_f32 s23, s22, s20
	s_wait_alu 0xfffe
	s_sub_f32 s14, s21, s14
	s_delay_alu instid0(SALU_CYCLE_1)
	s_add_f32 s24, s21, s23
	s_sub_f32 s22, s23, s22
	s_wait_alu 0xfffe
	s_sub_f32 s14, s15, s14
	s_sub_f32 s25, s24, s21
	;; [unrolled: 1-line block ×3, first 2 shown]
	s_wait_alu 0xfffe
	s_delay_alu instid0(SALU_CYCLE_1) | instskip(SKIP_2) | instid1(SALU_CYCLE_1)
	s_sub_f32 s26, s24, s25
	s_sub_f32 s20, s23, s25
	s_add_f32 s22, s14, s15
	s_sub_f32 s21, s21, s26
	s_wait_alu 0xfffe
	s_delay_alu instid0(SALU_CYCLE_2) | instskip(SKIP_2) | instid1(SALU_CYCLE_1)
	s_add_f32 s20, s20, s21
	s_sub_f32 s21, s22, s14
	s_wait_alu 0xfffe
	s_add_f32 s20, s22, s20
	s_delay_alu instid0(SALU_CYCLE_1)
	s_sub_f32 s22, s22, s21
	s_sub_f32 s15, s15, s21
	s_wait_alu 0xfffe
	s_add_f32 s23, s24, s20
	s_sub_f32 s14, s14, s22
	s_wait_alu 0xfffe
	s_delay_alu instid0(SALU_CYCLE_1) | instskip(NEXT) | instid1(SALU_CYCLE_1)
	s_sub_f32 s21, s23, s24
	s_add_f32 s14, s15, s14
	s_wait_alu 0xfffe
	s_delay_alu instid0(SALU_CYCLE_1) | instskip(SKIP_1) | instid1(SALU_CYCLE_2)
	s_sub_f32 s15, s20, s21
	s_wait_alu 0xfffe
	s_add_f32 s14, s14, s15
	s_wait_alu 0xfffe
	s_delay_alu instid0(SALU_CYCLE_2) | instskip(SKIP_1) | instid1(SALU_CYCLE_2)
	s_add_f32 s15, s23, s14
	s_wait_alu 0xfffe
	s_mul_f32 s20, s8, s15
	s_sub_f32 s21, s15, s23
	s_wait_alu 0xfffe
	s_delay_alu instid0(SALU_CYCLE_1) | instskip(NEXT) | instid1(SALU_CYCLE_1)
	s_xor_b32 s22, s20, 0x80000000
	s_sub_f32 s14, s14, s21
	s_wait_alu 0xfffe
	s_fmac_f32 s22, s8, s15
	s_wait_alu 0xfffe
	s_delay_alu instid0(SALU_CYCLE_2) | instskip(SKIP_2) | instid1(SALU_CYCLE_1)
	s_fmac_f32 s22, s8, s14
	v_cmp_class_f32_e64 s14, s20, 0x204
	s_wait_alu 0xfffe
	s_add_f32 s15, s20, s22
	s_and_b32 s14, s14, exec_lo
	s_wait_alu 0xfffe
	s_delay_alu instid0(SALU_CYCLE_1)
	s_sub_f32 s14, s15, s20
	s_cselect_b32 s15, s20, s15
	s_wait_alu 0xfffe
	s_and_b32 s20, s15, 0x7fffffff
	s_sub_f32 s14, s22, s14
	s_wait_alu 0xfffe
	s_cmp_neq_f32 s20, 0x7f800000
	s_delay_alu instid0(SALU_CYCLE_1)
	s_cselect_b32 s14, s14, 0
	s_cmp_eq_f32 s15, 0x42b17218
	s_cselect_b32 s20, 0x37000000, 0
	s_wait_alu 0xfffe
	s_sub_f32 s15, s15, s20
	s_add_f32 s14, s20, s14
	s_wait_alu 0xfffe
	s_delay_alu instid0(SALU_CYCLE_1) | instskip(SKIP_1) | instid1(SALU_CYCLE_2)
	s_mul_f32 s21, s15, 0x3fb8aa3b
	s_wait_alu 0xfffe
	s_xor_b32 s22, s21, 0x80000000
	s_rndne_f32 s23, s21
	s_wait_alu 0xfffe
	s_fmamk_f32 s22, s15, 0x3fb8aa3b, s22
	s_cmp_nlt_f32 s15, 0xc2ce8ed0
	s_sub_f32 s21, s21, s23
	s_wait_alu 0xfffe
	s_fmamk_f32 s22, s15, 0x32a5705f, s22
	s_cselect_b32 vcc_lo, -1, 0
	s_cmp_ngt_f32 s15, 0x42b17218
	s_trunc_f32 s15, s8
	s_wait_alu 0xfffe
	s_add_f32 s21, s21, s22
	s_cvt_i32_f32 s22, s23
	s_wait_alu 0xfffe
	s_delay_alu instid0(SALU_CYCLE_1) | instskip(SKIP_1) | instid1(TRANS32_DEP_1)
	v_s_exp_f32 s21, s21
	s_wait_alu 0xf1ff
	v_ldexp_f32 v1, s21, s22
	s_mul_f32 s21, s8, 0.5
	s_delay_alu instid0(VALU_DEP_1)
	v_cndmask_b32_e32 v1, 0, v1, vcc_lo
	s_cselect_b32 vcc_lo, -1, 0
	s_cmp_eq_f32 s15, s8
	s_wait_alu 0xfffe
	s_trunc_f32 s22, s21
	v_cndmask_b32_e32 v1, 0x7f800000, v1, vcc_lo
	s_cselect_b32 s23, -1, 0
	s_wait_alu 0xfffe
	s_cmp_neq_f32 s22, s21
	s_delay_alu instid0(VALU_DEP_1)
	v_fma_f32 v2, s14, v1, v1
	s_cselect_b32 s20, -1, 0
	v_cmp_class_f32_e64 vcc_lo, v1, 0x204
	s_wait_alu 0xfffe
	s_and_b32 s20, s23, s20
	s_wait_alu 0xfffe
	s_and_b32 s14, s20, exec_lo
	s_cselect_b32 s14, s9, 1.0
	s_cmp_eq_f32 s15, s8
	s_wait_alu 0xfffd
	v_cndmask_b32_e32 v1, v2, v1, vcc_lo
	s_cselect_b32 vcc_lo, -1, 0
	s_bitcmp1_b32 s11, 0
	s_wait_alu 0xfffe
	s_delay_alu instid0(VALU_DEP_1) | instskip(SKIP_3) | instid1(VALU_DEP_1)
	v_bfi_b32 v1, 0x7fffffff, v1, s14
	s_cselect_b32 s28, -1, 0
	s_and_b32 s11, s9, 0x7fffffff
	s_cmp_lt_f32 s9, 0
	v_cndmask_b32_e32 v2, 0x7fc00000, v1, vcc_lo
	s_cselect_b32 vcc_lo, -1, 0
	s_and_b32 s14, s8, 0x7fffffff
	s_wait_alu 0xfffe
	s_cmp_neq_f32 s8, s14
	v_cndmask_b32_e32 v1, v1, v2, vcc_lo
	s_cselect_b32 s14, -1, 0
	s_cmp_lt_f32 s11, 1.0
	s_cselect_b32 s15, -1, 0
	s_wait_alu 0xfffe
	s_xor_b32 s14, s14, s15
	v_cmp_class_f32_e64 s15, s8, 0x204
	s_wait_alu 0xfffe
	s_and_b32 s14, s14, exec_lo
	s_cselect_b32 s14, 0, 0x7f800000
	s_cmp_neq_f32 s11, 1.0
	s_wait_alu 0xfffe
	s_cselect_b32 s11, s14, 1.0
	s_cmp_eq_f32 s9, 0
	v_cmp_class_f32_e64 s14, s9, 0x204
	s_wait_alu 0xfffe
	v_cndmask_b32_e64 v1, v1, s11, s15
	s_cselect_b32 s21, -1, 0
	s_wait_alu 0xfffe
	s_or_b32 vcc_lo, s21, s14
	s_cmp_lt_f32 s8, 0
	s_mul_u64 s[14:15], s[2:3], 3
	s_add_nc_u64 s[2:3], s[0:1], s[2:3]
	s_wait_alu 0xfffe
	s_add_nc_u64 s[2:3], s[2:3], s[14:15]
	s_cselect_b32 s11, -1, 0
	s_load_b32 s2, s[2:3], 0x800
	s_xor_b32 s11, s11, s21
	v_cmp_class_f32_e64 s3, s6, 0x260
	s_wait_alu 0xfffe
	s_and_b32 s11, s11, exec_lo
	s_cselect_b32 s11, 0, 0x7f800000
	s_and_b32 s14, s20, exec_lo
	s_clause 0x1
	s_load_b64 s[20:21], s[0:1], s10 offset:0x120
	s_load_b64 s[24:25], s[0:1], s10 offset:0x0
	s_cselect_b32 s14, s9, 0
	s_clause 0x1
	s_load_b64 s[26:27], s[0:1], s10 offset:0x240
	s_load_b64 s[22:23], s[0:1], s10 offset:0x360
	v_mov_b32_e32 v2, s14
	s_cmp_o_f32 s9, s8
	s_mov_b32 s9, 0
	s_delay_alu instid0(VALU_DEP_1) | instskip(SKIP_2) | instid1(VALU_DEP_1)
	v_bfi_b32 v2, 0x7fffffff, s11, v2
	s_wait_alu 0xfffe
	s_mov_b32 s11, s9
	v_cndmask_b32_e32 v1, v1, v2, vcc_lo
	s_cselect_b32 vcc_lo, -1, 0
	s_and_b32 s3, s3, exec_lo
	s_cselect_b32 s29, s6, s7
	s_wait_kmcnt 0x0
	s_ashr_i32 s3, s2, 31
	v_sub_f32_e32 v1, 1.0, v1
	s_wait_alu 0xfffe
	s_lshl_b64 s[6:7], s[2:3], 17
	s_and_b32 s8, s24, 7
	s_wait_alu 0xfffe
	s_add_nc_u64 s[14:15], s[20:21], s[6:7]
	s_wait_alu 0xfffe
	s_and_b32 s10, s14, 7
	s_lshl_b64 s[14:15], s[2:3], 16
	s_wait_alu 0xfffe
	s_cmp_lg_u64 s[10:11], 0
	s_add_nc_u64 s[2:3], s[26:27], s[6:7]
	s_cselect_b32 s10, -1, 0
	s_wait_alu 0xfffe
	s_or_b32 s2, s22, s2
	s_mov_b32 s3, s9
	s_wait_alu 0xfffe
	s_and_b32 s2, s2, 7
	v_cndmask_b32_e32 v26, 0x7fc00000, v1, vcc_lo
	s_wait_alu 0xfffe
	s_cmp_lg_u32 s2, 0
	s_cselect_b32 s11, -1, 0
	s_and_b32 s2, s4, 3
	s_wait_alu 0xfffe
	s_or_b64 s[2:3], s[8:9], s[2:3]
	s_or_b32 s8, s11, s10
	s_wait_alu 0xfffe
	s_cmp_lg_u64 s[2:3], 0
	s_sub_nc_u64 s[10:11], s[4:5], s[14:15]
	s_cselect_b32 s2, -1, 0
	s_wait_alu 0xfffe
	s_or_b32 s3, s8, s2
	s_mov_b32 s2, -1
	s_wait_alu 0xfffe
	s_and_not1_b32 vcc_lo, exec_lo, s3
	s_wait_alu 0xfffe
	s_cbranch_vccz .LBB4_30
; %bb.7:
	v_cmp_gt_i64_e64 s2, 0x10000, s[10:11]
	v_dual_mov_b32 v2, 0 :: v_dual_lshlrev_b32 v1, 2, v0
	s_mov_b32 s14, exec_lo
	s_and_b32 s2, s2, exec_lo
	s_cselect_b32 s9, s11, 0
	s_cselect_b32 s8, s10, 0x10000
	s_wait_alu 0xfffe
	v_cmpx_gt_i64_e64 s[8:9], v[1:2]
	s_cbranch_execz .LBB4_29
; %bb.8:
	v_div_scale_f32 v1, null, v26, v26, v25
	v_div_scale_f32 v5, vcc_lo, v25, v26, v25
	s_load_b32 s3, s[0:1], 0xd64
	v_rcp_f32_e32 v3, v1
	v_xor_b32_e32 v4, 0x80000000, v1
	s_cmp_lg_u64 s[12:13], 0
	v_cmp_neq_f32_e64 s2, 0, v23
	s_cselect_b32 s15, -1, 0
	s_mov_b32 s17, 0
	v_lshlrev_b32_e32 v7, 3, v0
	s_delay_alu instid0(TRANS32_DEP_1) | instskip(NEXT) | instid1(VALU_DEP_2)
	v_fma_f32 v1, v4, v3, 1.0
	v_add_co_u32 v27, s4, s6, v7
	s_delay_alu instid0(VALU_DEP_1) | instskip(NEXT) | instid1(VALU_DEP_3)
	v_add_co_ci_u32_e64 v28, null, s7, 0, s4
	v_fmac_f32_e32 v3, v1, v3
	s_wait_kmcnt 0x0
	s_and_b32 s16, s3, 0xffff
	s_delay_alu instid0(VALU_DEP_1) | instskip(SKIP_2) | instid1(VALU_DEP_1)
	v_mul_f32_e32 v6, v5, v3
	s_wait_alu 0xfffe
	s_lshl_b32 s18, s16, 3
	v_fma_f32 v1, v4, v6, v5
	s_delay_alu instid0(VALU_DEP_1) | instskip(NEXT) | instid1(VALU_DEP_1)
	v_dual_fmac_f32 v6, v1, v3 :: v_dual_mov_b32 v1, v2
	v_fmac_f32_e32 v5, v4, v6
	s_delay_alu instid0(VALU_DEP_1) | instskip(NEXT) | instid1(VALU_DEP_1)
	v_div_fmas_f32 v3, v5, v3, v6
	v_div_fixup_f32 v29, v3, v26, v25
	s_delay_alu instid0(VALU_DEP_4)
	v_dual_mov_b32 v4, v1 :: v_dual_mov_b32 v3, v0
	s_branch .LBB4_10
.LBB4_9:                                ;   in Loop: Header=BB4_10 Depth=1
	v_bfe_u32 v9, v19, 16, 1
	v_bfe_u32 v10, v20, 16, 1
	;; [unrolled: 1-line block ×3, first 2 shown]
	v_cmp_o_f32_e32 vcc_lo, v19, v19
	v_bfe_u32 v12, v30, 16, 1
	v_add3_u32 v9, v19, v9, 0x7fff
	v_add3_u32 v10, v20, v10, 0x7fff
	;; [unrolled: 1-line block ×3, first 2 shown]
	v_bfe_u32 v13, v15, 16, 1
	v_add3_u32 v12, v30, v12, 0x7fff
	v_lshrrev_b32_e32 v9, 16, v9
	v_and_b32_e32 v10, 0xffff0000, v10
	v_lshrrev_b32_e32 v11, 16, v11
	v_bfe_u32 v14, v17, 16, 1
	v_and_b32_e32 v12, 0xffff0000, v12
	s_wait_alu 0xfffd
	v_cndmask_b32_e32 v9, 0x7fc0, v9, vcc_lo
	v_cmp_o_f32_e32 vcc_lo, v20, v20
	v_add_co_u32 v27, s3, v27, s18
	s_wait_alu 0xf1ff
	v_add_co_ci_u32_e64 v28, null, 0, v28, s3
	s_wait_alu 0xfffd
	v_cndmask_b32_e32 v10, 0x7fc00000, v10, vcc_lo
	v_cmp_o_f32_e32 vcc_lo, v1, v1
	s_wait_alu 0xfffd
	v_cndmask_b32_e32 v1, 0x7fc0, v11, vcc_lo
	v_cmp_o_f32_e32 vcc_lo, v30, v30
	v_or_b32_e32 v11, v10, v9
	v_add3_u32 v10, v15, v13, 0x7fff
	v_bfe_u32 v13, v16, 16, 1
	s_wait_alu 0xfffd
	v_cndmask_b32_e32 v9, 0x7fc00000, v12, vcc_lo
	v_add3_u32 v12, v17, v14, 0x7fff
	v_bfe_u32 v14, v18, 16, 1
	v_cmp_o_f32_e32 vcc_lo, v15, v15
	v_or3_b32 v11, v11, 0, 0
	v_or_b32_e32 v1, v9, v1
	v_lshrrev_b32_e32 v9, 16, v10
	v_lshrrev_b32_e32 v10, 16, v12
	v_add3_u32 v12, v16, v13, 0x7fff
	v_add3_u32 v13, v18, v14, 0x7fff
	s_wait_alu 0xfffd
	v_cndmask_b32_e32 v14, 0x7fc0, v9, vcc_lo
	v_cmp_o_f32_e32 vcc_lo, v17, v17
	v_and_b32_e32 v9, 0xffff0000, v12
	s_wait_alu 0xfffd
	v_cndmask_b32_e32 v15, 0x7fc0, v10, vcc_lo
	v_add_co_u32 v3, vcc_lo, v3, s16
	s_wait_alu 0xfffd
	v_add_co_ci_u32_e64 v4, null, 0, v4, vcc_lo
	v_cmp_o_f32_e32 vcc_lo, v16, v16
	v_and_b32_e32 v10, 0xffff0000, v13
	s_wait_alu 0xfffd
	v_cndmask_b32_e32 v12, 0x7fc00000, v9, vcc_lo
	v_cmp_o_f32_e32 vcc_lo, v18, v18
	s_delay_alu instid0(VALU_DEP_2) | instskip(SKIP_3) | instid1(VALU_DEP_2)
	v_or3_b32 v12, 0, v14, v12
	s_wait_alu 0xfffd
	v_cndmask_b32_e32 v13, 0x7fc00000, v10, vcc_lo
	v_lshlrev_b64_e32 v[9:10], 2, v[3:4]
	v_or3_b32 v14, 0, v15, v13
	v_or3_b32 v13, v1, 0, 0
	s_delay_alu instid0(VALU_DEP_3)
	v_cmp_le_i64_e32 vcc_lo, s[8:9], v[9:10]
	global_store_b64 v[5:6], v[11:12], off
	global_store_b64 v[7:8], v[13:14], off
	s_or_b32 s17, vcc_lo, s17
	s_wait_alu 0xfffe
	s_and_not1_b32 exec_lo, exec_lo, s17
	s_cbranch_execz .LBB4_29
.LBB4_10:                               ; =>This Inner Loop Header: Depth=1
	v_add_co_u32 v9, vcc_lo, s20, v27
	s_wait_alu 0xfffd
	v_add_co_ci_u32_e64 v10, null, s21, v28, vcc_lo
	v_add_co_u32 v11, vcc_lo, s24, v27
	s_wait_alu 0xfffd
	v_add_co_ci_u32_e64 v12, null, s25, v28, vcc_lo
	;; [unrolled: 3-line block ×3, first 2 shown]
	v_add_co_u32 v7, vcc_lo, s22, v27
	global_load_b64 v[13:14], v[9:10], off
	s_wait_alu 0xfffd
	v_add_co_ci_u32_e64 v8, null, s23, v28, vcc_lo
	global_load_b64 v[19:20], v[11:12], off
	global_load_b64 v[15:16], v[5:6], off
	;; [unrolled: 1-line block ×3, first 2 shown]
	s_and_not1_b32 vcc_lo, exec_lo, s15
	s_wait_loadcnt 0x3
	v_lshlrev_b32_e32 v1, 16, v13
	s_wait_alu 0xfffe
	s_cbranch_vccnz .LBB4_12
; %bb.11:                               ;   in Loop: Header=BB4_10 Depth=1
	global_load_b32 v30, v2, s[12:13]
	s_wait_loadcnt 0x0
	v_div_scale_f32 v31, null, v30, v30, v1
	s_delay_alu instid0(VALU_DEP_1) | instskip(NEXT) | instid1(TRANS32_DEP_1)
	v_rcp_f32_e32 v32, v31
	v_fma_f32 v33, -v31, v32, 1.0
	s_delay_alu instid0(VALU_DEP_1) | instskip(SKIP_1) | instid1(VALU_DEP_1)
	v_fmac_f32_e32 v32, v33, v32
	v_div_scale_f32 v33, vcc_lo, v1, v30, v1
	v_mul_f32_e32 v34, v33, v32
	s_delay_alu instid0(VALU_DEP_1) | instskip(NEXT) | instid1(VALU_DEP_1)
	v_fma_f32 v35, -v31, v34, v33
	v_fmac_f32_e32 v34, v35, v32
	s_delay_alu instid0(VALU_DEP_1) | instskip(SKIP_1) | instid1(VALU_DEP_1)
	v_fma_f32 v31, -v31, v34, v33
	s_wait_alu 0xfffd
	v_div_fmas_f32 v31, v31, v32, v34
	s_delay_alu instid0(VALU_DEP_1)
	v_div_fixup_f32 v1, v31, v30, v1
.LBB4_12:                               ;   in Loop: Header=BB4_10 Depth=1
	s_and_not1_b32 vcc_lo, exec_lo, s15
	s_wait_alu 0xfffe
	s_cbranch_vccnz .LBB4_14
; %bb.13:                               ;   in Loop: Header=BB4_10 Depth=1
	s_delay_alu instid0(VALU_DEP_1) | instskip(SKIP_2) | instid1(VALU_DEP_3)
	v_bfe_u32 v30, v1, 16, 1
	v_cmp_o_f32_e32 vcc_lo, v1, v1
	v_and_b32_e32 v13, 0xffff0000, v13
	v_add3_u32 v30, v1, v30, 0x7fff
	s_delay_alu instid0(VALU_DEP_1) | instskip(SKIP_1) | instid1(VALU_DEP_1)
	v_lshrrev_b32_e32 v30, 16, v30
	s_wait_alu 0xfffd
	v_cndmask_b32_e32 v30, 0x7fc0, v30, vcc_lo
	s_delay_alu instid0(VALU_DEP_1)
	v_or_b32_e32 v13, v30, v13
.LBB4_14:                               ;   in Loop: Header=BB4_10 Depth=1
	s_delay_alu instid0(VALU_DEP_1)
	v_and_b32_e32 v30, 0xffff0000, v13
	s_and_not1_b32 vcc_lo, exec_lo, s15
	s_wait_alu 0xfffe
	s_cbranch_vccnz .LBB4_16
; %bb.15:                               ;   in Loop: Header=BB4_10 Depth=1
	global_load_b32 v31, v2, s[12:13]
	s_wait_loadcnt 0x0
	v_div_scale_f32 v32, null, v31, v31, v30
	s_delay_alu instid0(VALU_DEP_1) | instskip(NEXT) | instid1(TRANS32_DEP_1)
	v_rcp_f32_e32 v33, v32
	v_fma_f32 v34, -v32, v33, 1.0
	s_delay_alu instid0(VALU_DEP_1) | instskip(SKIP_1) | instid1(VALU_DEP_1)
	v_fmac_f32_e32 v33, v34, v33
	v_div_scale_f32 v34, vcc_lo, v30, v31, v30
	v_mul_f32_e32 v35, v34, v33
	s_delay_alu instid0(VALU_DEP_1) | instskip(NEXT) | instid1(VALU_DEP_1)
	v_fma_f32 v36, -v32, v35, v34
	v_fmac_f32_e32 v35, v36, v33
	s_delay_alu instid0(VALU_DEP_1) | instskip(SKIP_1) | instid1(VALU_DEP_1)
	v_fma_f32 v32, -v32, v35, v34
	s_wait_alu 0xfffd
	v_div_fmas_f32 v32, v32, v33, v35
	s_delay_alu instid0(VALU_DEP_1)
	v_div_fixup_f32 v30, v32, v31, v30
.LBB4_16:                               ;   in Loop: Header=BB4_10 Depth=1
	s_and_not1_b32 vcc_lo, exec_lo, s15
	s_wait_alu 0xfffe
	s_cbranch_vccnz .LBB4_18
; %bb.17:                               ;   in Loop: Header=BB4_10 Depth=1
	s_delay_alu instid0(VALU_DEP_1) | instskip(SKIP_2) | instid1(VALU_DEP_3)
	v_bfe_u32 v31, v30, 16, 1
	v_cmp_o_f32_e32 vcc_lo, v30, v30
	v_and_b32_e32 v13, 0xffff, v13
	v_add3_u32 v31, v30, v31, 0x7fff
	s_delay_alu instid0(VALU_DEP_1) | instskip(SKIP_1) | instid1(VALU_DEP_1)
	v_and_b32_e32 v31, 0xffff0000, v31
	s_wait_alu 0xfffd
	v_cndmask_b32_e32 v31, 0x7fc00000, v31, vcc_lo
	s_delay_alu instid0(VALU_DEP_1)
	v_or_b32_e32 v13, v31, v13
.LBB4_18:                               ;   in Loop: Header=BB4_10 Depth=1
	s_delay_alu instid0(VALU_DEP_1) | instskip(SKIP_1) | instid1(VALU_DEP_1)
	v_alignbit_b32 v31, v14, v13, 16
	s_and_not1_b32 vcc_lo, exec_lo, s15
	v_and_b32_e32 v32, 0xffff0000, v31
	s_wait_alu 0xfffe
	s_cbranch_vccnz .LBB4_20
; %bb.19:                               ;   in Loop: Header=BB4_10 Depth=1
	global_load_b32 v31, v2, s[12:13]
	s_wait_loadcnt 0x0
	v_div_scale_f32 v33, null, v31, v31, v32
	s_delay_alu instid0(VALU_DEP_1) | instskip(NEXT) | instid1(TRANS32_DEP_1)
	v_rcp_f32_e32 v34, v33
	v_fma_f32 v35, -v33, v34, 1.0
	s_delay_alu instid0(VALU_DEP_1) | instskip(SKIP_1) | instid1(VALU_DEP_1)
	v_fmac_f32_e32 v34, v35, v34
	v_div_scale_f32 v35, vcc_lo, v32, v31, v32
	v_mul_f32_e32 v36, v35, v34
	s_delay_alu instid0(VALU_DEP_1) | instskip(NEXT) | instid1(VALU_DEP_1)
	v_fma_f32 v37, -v33, v36, v35
	v_fmac_f32_e32 v36, v37, v34
	s_delay_alu instid0(VALU_DEP_1) | instskip(SKIP_1) | instid1(VALU_DEP_1)
	v_fma_f32 v33, -v33, v36, v35
	s_wait_alu 0xfffd
	v_div_fmas_f32 v33, v33, v34, v36
	s_delay_alu instid0(VALU_DEP_1)
	v_div_fixup_f32 v32, v33, v31, v32
.LBB4_20:                               ;   in Loop: Header=BB4_10 Depth=1
	s_and_not1_b32 vcc_lo, exec_lo, s15
	s_wait_alu 0xfffe
	s_cbranch_vccnz .LBB4_22
; %bb.21:                               ;   in Loop: Header=BB4_10 Depth=1
	s_delay_alu instid0(VALU_DEP_1) | instskip(SKIP_2) | instid1(VALU_DEP_3)
	v_bfe_u32 v31, v32, 16, 1
	v_cmp_o_f32_e32 vcc_lo, v32, v32
	v_and_b32_e32 v14, 0xffff0000, v14
	v_add3_u32 v31, v32, v31, 0x7fff
	s_delay_alu instid0(VALU_DEP_1) | instskip(SKIP_1) | instid1(VALU_DEP_1)
	v_lshrrev_b32_e32 v31, 16, v31
	s_wait_alu 0xfffd
	v_cndmask_b32_e32 v31, 0x7fc0, v31, vcc_lo
	s_delay_alu instid0(VALU_DEP_1)
	v_or_b32_e32 v14, v31, v14
.LBB4_22:                               ;   in Loop: Header=BB4_10 Depth=1
	s_delay_alu instid0(VALU_DEP_1)
	v_and_b32_e32 v31, 0xffff0000, v14
	s_and_not1_b32 vcc_lo, exec_lo, s15
	s_wait_alu 0xfffe
	s_cbranch_vccnz .LBB4_24
; %bb.23:                               ;   in Loop: Header=BB4_10 Depth=1
	global_load_b32 v33, v2, s[12:13]
	s_wait_loadcnt 0x0
	v_div_scale_f32 v34, null, v33, v33, v31
	s_delay_alu instid0(VALU_DEP_1) | instskip(NEXT) | instid1(TRANS32_DEP_1)
	v_rcp_f32_e32 v35, v34
	v_fma_f32 v36, -v34, v35, 1.0
	s_delay_alu instid0(VALU_DEP_1) | instskip(SKIP_1) | instid1(VALU_DEP_1)
	v_fmac_f32_e32 v35, v36, v35
	v_div_scale_f32 v36, vcc_lo, v31, v33, v31
	v_mul_f32_e32 v37, v36, v35
	s_delay_alu instid0(VALU_DEP_1) | instskip(NEXT) | instid1(VALU_DEP_1)
	v_fma_f32 v38, -v34, v37, v36
	v_fmac_f32_e32 v37, v38, v35
	s_delay_alu instid0(VALU_DEP_1) | instskip(SKIP_1) | instid1(VALU_DEP_1)
	v_fma_f32 v34, -v34, v37, v36
	s_wait_alu 0xfffd
	v_div_fmas_f32 v34, v34, v35, v37
	s_delay_alu instid0(VALU_DEP_1)
	v_div_fixup_f32 v31, v34, v33, v31
.LBB4_24:                               ;   in Loop: Header=BB4_10 Depth=1
	s_and_not1_b32 vcc_lo, exec_lo, s15
	s_wait_alu 0xfffe
	s_cbranch_vccnz .LBB4_26
; %bb.25:                               ;   in Loop: Header=BB4_10 Depth=1
	s_delay_alu instid0(VALU_DEP_1) | instskip(SKIP_2) | instid1(VALU_DEP_3)
	v_bfe_u32 v33, v31, 16, 1
	v_cmp_o_f32_e32 vcc_lo, v31, v31
	v_and_b32_e32 v14, 0xffff, v14
	v_add3_u32 v33, v31, v33, 0x7fff
	s_delay_alu instid0(VALU_DEP_1) | instskip(SKIP_1) | instid1(VALU_DEP_1)
	v_and_b32_e32 v33, 0xffff0000, v33
	s_wait_alu 0xfffd
	v_cndmask_b32_e32 v33, 0x7fc00000, v33, vcc_lo
	s_delay_alu instid0(VALU_DEP_1)
	v_or_b32_e32 v14, v33, v14
.LBB4_26:                               ;   in Loop: Header=BB4_10 Depth=1
	s_wait_loadcnt 0x2
	v_lshlrev_b32_e32 v33, 16, v19
	v_cndmask_b32_e64 v1, v1, -v1, s28
	s_wait_loadcnt 0x0
	v_lshlrev_b32_e32 v35, 16, v17
	v_and_b32_e32 v40, 0xffff0000, v19
	v_cndmask_b32_e64 v30, v30, -v30, s28
	v_alignbit_b32 v19, v20, v19, 16
	v_fma_f32 v34, v23, v33, v1
	v_cndmask_b32_e64 v32, v32, -v32, s28
	v_lshlrev_b32_e32 v48, 16, v15
	s_delay_alu instid0(VALU_DEP_4) | instskip(NEXT) | instid1(VALU_DEP_4)
	v_and_b32_e32 v45, 0xffff0000, v19
	v_cndmask_b32_e64 v34, v1, v34, s2
	s_delay_alu instid0(VALU_DEP_1) | instskip(NEXT) | instid1(VALU_DEP_1)
	v_mul_f32_e32 v1, v34, v34
	v_fma_f32 v1, -v21, v1, v1
	s_delay_alu instid0(VALU_DEP_1) | instskip(NEXT) | instid1(VALU_DEP_1)
	v_fmac_f32_e32 v1, v21, v35
	v_mul_f32_e32 v35, 0x4f800000, v1
	v_cmp_gt_f32_e32 vcc_lo, 0xf800000, v1
	s_wait_alu 0xfffd
	s_delay_alu instid0(VALU_DEP_2) | instskip(NEXT) | instid1(VALU_DEP_1)
	v_cndmask_b32_e32 v35, v1, v35, vcc_lo
	v_sqrt_f32_e32 v36, v35
	s_delay_alu instid0(TRANS32_DEP_1) | instskip(SKIP_1) | instid1(VALU_DEP_2)
	v_add_nc_u32_e32 v37, -1, v36
	v_add_nc_u32_e32 v38, 1, v36
	v_fma_f32 v39, -v37, v36, v35
	s_delay_alu instid0(VALU_DEP_2) | instskip(NEXT) | instid1(VALU_DEP_2)
	v_fma_f32 v41, -v38, v36, v35
	v_cmp_ge_f32_e64 s3, 0, v39
	s_wait_alu 0xf1ff
	s_delay_alu instid0(VALU_DEP_1) | instskip(NEXT) | instid1(VALU_DEP_3)
	v_cndmask_b32_e64 v36, v36, v37, s3
	v_cmp_lt_f32_e64 s3, 0, v41
	v_fma_f32 v37, v23, v40, v30
	s_wait_alu 0xf1ff
	s_delay_alu instid0(VALU_DEP_2) | instskip(NEXT) | instid1(VALU_DEP_2)
	v_cndmask_b32_e64 v36, v36, v38, s3
	v_cndmask_b32_e64 v37, v30, v37, s2
	s_delay_alu instid0(VALU_DEP_2) | instskip(NEXT) | instid1(VALU_DEP_1)
	v_mul_f32_e32 v38, 0x37800000, v36
	v_cndmask_b32_e32 v30, v36, v38, vcc_lo
	v_cmp_class_f32_e64 vcc_lo, v35, 0x260
	s_delay_alu instid0(VALU_DEP_4)
	v_mul_f32_e32 v36, v37, v37
	v_and_b32_e32 v38, 0xffff0000, v17
	v_alignbit_b32 v17, v18, v17, 16
	s_wait_alu 0xfffd
	v_cndmask_b32_e32 v35, v30, v35, vcc_lo
	v_fma_f32 v30, -v21, v36, v36
	s_delay_alu instid0(VALU_DEP_2) | instskip(NEXT) | instid1(VALU_DEP_2)
	v_div_scale_f32 v36, null, s29, s29, v35
	v_fmac_f32_e32 v30, v21, v38
	v_div_scale_f32 v43, vcc_lo, v35, s29, v35
	s_delay_alu instid0(VALU_DEP_3) | instskip(NEXT) | instid1(VALU_DEP_2)
	v_rcp_f32_e32 v38, v36
	v_mul_f32_e32 v39, 0x4f800000, v30
	v_cmp_gt_f32_e64 s3, 0xf800000, v30
	s_wait_alu 0xf1ff
	s_delay_alu instid0(VALU_DEP_1) | instskip(NEXT) | instid1(TRANS32_DEP_1)
	v_cndmask_b32_e64 v39, v30, v39, s3
	v_fma_f32 v41, -v36, v38, 1.0
	s_delay_alu instid0(VALU_DEP_2) | instskip(NEXT) | instid1(VALU_DEP_1)
	v_sqrt_f32_e32 v42, v39
	v_fmac_f32_e32 v38, v41, v38
	s_delay_alu instid0(VALU_DEP_1) | instskip(NEXT) | instid1(TRANS32_DEP_1)
	v_mul_f32_e32 v41, v43, v38
	v_add_nc_u32_e32 v44, -1, v42
	s_delay_alu instid0(VALU_DEP_2) | instskip(NEXT) | instid1(VALU_DEP_2)
	v_fma_f32 v19, -v36, v41, v43
	v_fma_f32 v47, -v44, v42, v39
	s_delay_alu instid0(VALU_DEP_2) | instskip(SKIP_1) | instid1(VALU_DEP_3)
	v_fmac_f32_e32 v41, v19, v38
	v_fma_f32 v19, -v22, v34, v34
	v_cmp_ge_f32_e64 s4, 0, v47
	s_delay_alu instid0(VALU_DEP_3) | instskip(SKIP_1) | instid1(VALU_DEP_1)
	v_fma_f32 v34, -v36, v41, v43
	s_wait_alu 0xfffd
	v_div_fmas_f32 v34, v34, v38, v41
	v_cmp_class_f32_e64 vcc_lo, v39, 0x260
	s_delay_alu instid0(VALU_DEP_2) | instskip(NEXT) | instid1(VALU_DEP_1)
	v_div_fixup_f32 v34, v34, s29, v35
	v_add_f32_e32 v34, v34, v24
	v_fma_f32 v49, v23, v45, v32
	s_delay_alu instid0(VALU_DEP_1) | instskip(NEXT) | instid1(VALU_DEP_1)
	v_cndmask_b32_e64 v32, v32, v49, s2
	v_dual_mul_f32 v41, v32, v32 :: v_dual_add_nc_u32 v46, 1, v42
	s_delay_alu instid0(VALU_DEP_1)
	v_fma_f32 v50, -v46, v42, v39
	s_wait_alu 0xf1ff
	v_cndmask_b32_e64 v42, v42, v44, s4
	v_and_b32_e32 v44, 0xffff0000, v20
	v_cndmask_b32_e64 v20, v31, -v31, s28
	v_cmp_lt_f32_e64 s4, 0, v50
	s_delay_alu instid0(VALU_DEP_2) | instskip(SKIP_1) | instid1(VALU_DEP_2)
	v_fma_f32 v51, v23, v44, v20
	s_wait_alu 0xf1ff
	v_cndmask_b32_e64 v36, v42, v46, s4
	s_delay_alu instid0(VALU_DEP_2) | instskip(NEXT) | instid1(VALU_DEP_2)
	v_cndmask_b32_e64 v51, v20, v51, s2
	v_mul_f32_e32 v38, 0x37800000, v36
	s_delay_alu instid0(VALU_DEP_1) | instskip(SKIP_1) | instid1(VALU_DEP_1)
	v_cndmask_b32_e64 v36, v36, v38, s3
	s_wait_alu 0xfffd
	v_dual_fmac_f32 v19, v22, v48 :: v_dual_cndmask_b32 v36, v36, v39
	s_delay_alu instid0(VALU_DEP_1) | instskip(SKIP_1) | instid1(VALU_DEP_3)
	v_dual_mul_f32 v38, v29, v19 :: v_dual_and_b32 v35, 0xffff0000, v17
	v_fma_f32 v17, -v21, v41, v41
	v_div_scale_f32 v39, null, s29, s29, v36
	s_delay_alu instid0(VALU_DEP_3) | instskip(NEXT) | instid1(VALU_DEP_3)
	v_div_scale_f32 v48, vcc_lo, v38, v34, v38
	v_fmac_f32_e32 v17, v21, v35
	s_delay_alu instid0(VALU_DEP_3) | instskip(SKIP_1) | instid1(VALU_DEP_2)
	v_rcp_f32_e32 v43, v39
	v_div_scale_f32 v35, null, v34, v34, v38
	v_cmp_gt_f32_e64 s3, 0xf800000, v17
	s_delay_alu instid0(VALU_DEP_2) | instskip(NEXT) | instid1(TRANS32_DEP_2)
	v_rcp_f32_e32 v41, v35
	v_fma_f32 v47, -v39, v43, 1.0
	s_delay_alu instid0(VALU_DEP_1) | instskip(SKIP_1) | instid1(VALU_DEP_1)
	v_dual_mul_f32 v42, 0x4f800000, v17 :: v_dual_fmac_f32 v43, v47, v43
	s_wait_alu 0xf1ff
	v_cndmask_b32_e64 v42, v17, v42, s3
	s_delay_alu instid0(TRANS32_DEP_1) | instskip(NEXT) | instid1(VALU_DEP_2)
	v_fma_f32 v31, -v35, v41, 1.0
	v_sqrt_f32_e32 v46, v42
	s_delay_alu instid0(VALU_DEP_1) | instskip(SKIP_1) | instid1(VALU_DEP_1)
	v_fmac_f32_e32 v41, v31, v41
	v_div_scale_f32 v31, s4, v36, s29, v36
	v_mul_f32_e32 v52, v31, v43
	s_delay_alu instid0(TRANS32_DEP_1) | instid1(VALU_DEP_3)
	v_dual_mul_f32 v49, v48, v41 :: v_dual_add_nc_u32 v50, -1, v46
	s_delay_alu instid0(VALU_DEP_2) | instskip(SKIP_1) | instid1(VALU_DEP_3)
	v_fma_f32 v20, -v39, v52, v31
	v_add_nc_u32_e32 v53, 1, v46
	v_fma_f32 v55, -v50, v46, v42
	s_delay_alu instid0(VALU_DEP_4) | instskip(NEXT) | instid1(VALU_DEP_4)
	v_fma_f32 v54, -v35, v49, v48
	v_fmac_f32_e32 v52, v20, v43
	s_delay_alu instid0(VALU_DEP_4)
	v_fma_f32 v56, -v53, v46, v42
	v_fma_f32 v20, -v22, v37, v37
	v_cmp_ge_f32_e64 s5, 0, v55
	v_fmac_f32_e32 v49, v54, v41
	v_fma_f32 v31, -v39, v52, v31
	s_wait_alu 0xf1ff
	s_delay_alu instid0(VALU_DEP_3) | instskip(NEXT) | instid1(VALU_DEP_3)
	v_cndmask_b32_e64 v46, v46, v50, s5
	v_fma_f32 v35, -v35, v49, v48
	v_cmp_lt_f32_e64 s5, 0, v56
	s_wait_alu 0xfffd
	s_delay_alu instid0(VALU_DEP_2)
	v_div_fmas_f32 v35, v35, v41, v49
	s_mov_b32 vcc_lo, s4
	v_mul_f32_e32 v41, v51, v51
	s_wait_alu 0xfffe
	v_div_fmas_f32 v31, v31, v43, v52
	v_cndmask_b32_e64 v37, v46, v53, s5
	v_cmp_class_f32_e64 vcc_lo, v42, 0x260
	v_div_fixup_f32 v34, v35, v34, v38
	s_delay_alu instid0(VALU_DEP_4) | instskip(SKIP_4) | instid1(VALU_DEP_3)
	v_div_fixup_f32 v31, v31, s29, v36
	v_and_b32_e32 v36, 0xffff0000, v18
	v_fma_f32 v18, -v21, v41, v41
	v_and_b32_e32 v47, 0xffff0000, v15
	v_alignbit_b32 v15, v16, v15, 16
	v_dual_fmac_f32 v18, v21, v36 :: v_dual_mul_f32 v39, 0x37800000, v37
	s_delay_alu instid0(VALU_DEP_3) | instskip(NEXT) | instid1(VALU_DEP_3)
	v_fmac_f32_e32 v20, v22, v47
	v_and_b32_e32 v57, 0xffff0000, v15
	s_delay_alu instid0(VALU_DEP_3) | instskip(NEXT) | instid1(VALU_DEP_4)
	v_mul_f32_e32 v43, 0x4f800000, v18
	v_cndmask_b32_e64 v37, v37, v39, s3
	v_cmp_gt_f32_e64 s3, 0xf800000, v18
	v_mul_f32_e32 v39, v29, v20
	s_wait_alu 0xf1ff
	s_delay_alu instid0(VALU_DEP_2) | instskip(SKIP_1) | instid1(VALU_DEP_2)
	v_cndmask_b32_e64 v43, v18, v43, s3
	v_add_f32_e32 v31, v31, v24
	v_sqrt_f32_e32 v48, v43
	s_wait_alu 0xfffd
	v_cndmask_b32_e32 v37, v37, v42, vcc_lo
	s_delay_alu instid0(VALU_DEP_2) | instskip(NEXT) | instid1(VALU_DEP_1)
	v_div_scale_f32 v36, null, v31, v31, v39
	v_rcp_f32_e32 v42, v36
	s_delay_alu instid0(TRANS32_DEP_2) | instskip(NEXT) | instid1(VALU_DEP_3)
	v_add_nc_u32_e32 v52, -1, v48
	v_div_scale_f32 v41, null, s29, s29, v37
	v_add_nc_u32_e32 v54, 1, v48
	s_delay_alu instid0(VALU_DEP_3) | instskip(NEXT) | instid1(VALU_DEP_3)
	v_fma_f32 v56, -v52, v48, v43
	v_rcp_f32_e32 v46, v41
	s_delay_alu instid0(TRANS32_DEP_2) | instskip(NEXT) | instid1(VALU_DEP_3)
	v_fma_f32 v47, -v36, v42, 1.0
	v_fma_f32 v58, -v54, v48, v43
	s_delay_alu instid0(VALU_DEP_3) | instskip(NEXT) | instid1(VALU_DEP_3)
	v_cmp_ge_f32_e64 s5, 0, v56
	v_fmac_f32_e32 v42, v47, v42
	v_div_scale_f32 v50, vcc_lo, v39, v31, v39
	v_div_scale_f32 v47, s4, v37, s29, v37
	s_delay_alu instid0(TRANS32_DEP_1) | instskip(SKIP_3) | instid1(VALU_DEP_3)
	v_fma_f32 v49, -v41, v46, 1.0
	s_wait_alu 0xf1ff
	v_cndmask_b32_e64 v48, v48, v52, s5
	v_cmp_lt_f32_e64 s5, 0, v58
	v_fmac_f32_e32 v46, v49, v46
	v_mul_f32_e32 v49, v50, v42
	s_delay_alu instid0(VALU_DEP_2) | instskip(NEXT) | instid1(VALU_DEP_2)
	v_mul_f32_e32 v53, v47, v46
	v_fma_f32 v55, -v36, v49, v50
	s_delay_alu instid0(VALU_DEP_2) | instskip(NEXT) | instid1(VALU_DEP_2)
	v_fma_f32 v15, -v41, v53, v47
	v_fmac_f32_e32 v49, v55, v42
	s_delay_alu instid0(VALU_DEP_2) | instskip(SKIP_1) | instid1(VALU_DEP_3)
	v_fmac_f32_e32 v53, v15, v46
	v_fma_f32 v15, -v22, v32, v32
	v_fma_f32 v32, -v36, v49, v50
	s_wait_alu 0xf1ff
	v_cndmask_b32_e64 v36, v48, v54, s5
	v_fma_f32 v41, -v41, v53, v47
	v_fmac_f32_e32 v15, v22, v57
	s_wait_alu 0xfffd
	v_div_fmas_f32 v32, v32, v42, v49
	s_mov_b32 vcc_lo, s4
	v_mul_f32_e32 v42, 0x37800000, v36
	s_wait_alu 0xfffe
	v_div_fmas_f32 v41, v41, v46, v53
	v_cmp_class_f32_e64 vcc_lo, v43, 0x260
	s_delay_alu instid0(VALU_DEP_3) | instskip(NEXT) | instid1(VALU_DEP_3)
	v_cndmask_b32_e64 v36, v36, v42, s3
	v_div_fixup_f32 v37, v41, s29, v37
	v_mul_f32_e32 v41, v29, v15
	s_wait_alu 0xfffd
	s_delay_alu instid0(VALU_DEP_2) | instskip(SKIP_2) | instid1(VALU_DEP_3)
	v_dual_cndmask_b32 v36, v36, v43 :: v_dual_add_f32 v37, v37, v24
	v_div_fixup_f32 v31, v32, v31, v39
	v_sub_f32_e32 v32, v33, v34
	v_div_scale_f32 v43, null, s29, s29, v36
	s_delay_alu instid0(VALU_DEP_4) | instskip(SKIP_1) | instid1(VALU_DEP_3)
	v_div_scale_f32 v42, null, v37, v37, v41
	v_div_scale_f32 v50, vcc_lo, v41, v37, v41
	v_rcp_f32_e32 v47, v43
	s_delay_alu instid0(VALU_DEP_2) | instskip(SKIP_1) | instid1(TRANS32_DEP_2)
	v_rcp_f32_e32 v46, v42
	v_sub_f32_e32 v31, v40, v31
	v_fma_f32 v49, -v43, v47, 1.0
	s_delay_alu instid0(TRANS32_DEP_1) | instskip(NEXT) | instid1(VALU_DEP_1)
	v_fma_f32 v48, -v42, v46, 1.0
	v_dual_fmac_f32 v47, v49, v47 :: v_dual_fmac_f32 v46, v48, v46
	v_div_scale_f32 v48, s3, v36, s29, v36
	s_delay_alu instid0(VALU_DEP_1) | instskip(NEXT) | instid1(VALU_DEP_1)
	v_dual_mul_f32 v49, v50, v46 :: v_dual_mul_f32 v52, v48, v47
	v_fma_f32 v53, -v42, v49, v50
	s_delay_alu instid0(VALU_DEP_2) | instskip(NEXT) | instid1(VALU_DEP_1)
	v_fma_f32 v54, -v43, v52, v48
	v_dual_fmac_f32 v49, v53, v46 :: v_dual_fmac_f32 v52, v54, v47
	v_and_b32_e32 v53, 0xffff0000, v16
	v_fma_f32 v16, -v22, v51, v51
	s_delay_alu instid0(VALU_DEP_3) | instskip(NEXT) | instid1(VALU_DEP_4)
	v_fma_f32 v42, -v42, v49, v50
	v_fma_f32 v43, -v43, v52, v48
	s_delay_alu instid0(VALU_DEP_3) | instskip(SKIP_1) | instid1(VALU_DEP_3)
	v_fmac_f32_e32 v16, v22, v53
	s_wait_alu 0xfffd
	v_div_fmas_f32 v42, v42, v46, v49
	s_mov_b32 vcc_lo, s3
	s_wait_alu 0xfffe
	v_div_fmas_f32 v43, v43, v47, v52
	s_delay_alu instid0(VALU_DEP_1) | instskip(SKIP_1) | instid1(VALU_DEP_2)
	v_div_fixup_f32 v36, v43, s29, v36
	v_mul_f32_e32 v43, v29, v16
	v_add_f32_e32 v36, v36, v24
	s_delay_alu instid0(VALU_DEP_1) | instskip(SKIP_1) | instid1(VALU_DEP_2)
	v_div_scale_f32 v46, null, v36, v36, v43
	v_div_scale_f32 v49, vcc_lo, v43, v36, v43
	v_rcp_f32_e32 v47, v46
	s_delay_alu instid0(TRANS32_DEP_1) | instskip(NEXT) | instid1(VALU_DEP_1)
	v_fma_f32 v48, -v46, v47, 1.0
	v_fmac_f32_e32 v47, v48, v47
	s_delay_alu instid0(VALU_DEP_1) | instskip(NEXT) | instid1(VALU_DEP_1)
	v_mul_f32_e32 v48, v49, v47
	v_fma_f32 v50, -v46, v48, v49
	s_delay_alu instid0(VALU_DEP_1) | instskip(SKIP_1) | instid1(VALU_DEP_2)
	v_fmac_f32_e32 v48, v50, v47
	v_div_fixup_f32 v33, v42, v37, v41
	v_fma_f32 v46, -v46, v48, v49
	s_delay_alu instid0(VALU_DEP_2) | instskip(SKIP_1) | instid1(VALU_DEP_2)
	v_sub_f32_e32 v33, v45, v33
	s_wait_alu 0xfffd
	v_div_fmas_f32 v35, v46, v47, v48
	s_delay_alu instid0(VALU_DEP_2) | instskip(SKIP_1) | instid1(VALU_DEP_3)
	v_bfe_u32 v37, v33, 16, 1
	v_cmp_o_f32_e32 vcc_lo, v32, v32
	v_div_fixup_f32 v34, v35, v36, v43
	v_bfe_u32 v35, v32, 16, 1
	v_bfe_u32 v36, v31, 16, 1
	v_add3_u32 v37, v33, v37, 0x7fff
	s_delay_alu instid0(VALU_DEP_4) | instskip(NEXT) | instid1(VALU_DEP_4)
	v_sub_f32_e32 v34, v44, v34
	v_add3_u32 v35, v32, v35, 0x7fff
	s_delay_alu instid0(VALU_DEP_4) | instskip(NEXT) | instid1(VALU_DEP_3)
	v_add3_u32 v36, v31, v36, 0x7fff
	v_bfe_u32 v38, v34, 16, 1
	s_delay_alu instid0(VALU_DEP_3) | instskip(NEXT) | instid1(VALU_DEP_3)
	v_lshrrev_b32_e32 v35, 16, v35
	v_and_b32_e32 v36, 0xffff0000, v36
	s_delay_alu instid0(VALU_DEP_3) | instskip(SKIP_1) | instid1(VALU_DEP_3)
	v_add3_u32 v38, v34, v38, 0x7fff
	s_wait_alu 0xfffd
	v_cndmask_b32_e32 v32, 0x7fc0, v35, vcc_lo
	v_cmp_o_f32_e32 vcc_lo, v31, v31
	v_lshrrev_b32_e32 v35, 16, v37
	v_and_b32_e32 v37, 0xffff0000, v38
	s_wait_alu 0xfffd
	v_cndmask_b32_e32 v31, 0x7fc00000, v36, vcc_lo
	v_cmp_o_f32_e32 vcc_lo, v33, v33
	s_delay_alu instid0(VALU_DEP_2) | instskip(SKIP_3) | instid1(VALU_DEP_3)
	v_or_b32_e32 v31, v31, v32
	s_wait_alu 0xfffd
	v_cndmask_b32_e32 v33, 0x7fc0, v35, vcc_lo
	v_cmp_o_f32_e32 vcc_lo, v34, v34
	v_or3_b32 v31, v31, 0, 0
	s_wait_alu 0xfffd
	v_cndmask_b32_e32 v34, 0x7fc00000, v37, vcc_lo
	s_and_not1_b32 vcc_lo, exec_lo, s15
	s_delay_alu instid0(VALU_DEP_1)
	v_or3_b32 v32, 0, v33, v34
	global_store_b64 v[11:12], v[31:32], off
	s_wait_alu 0xfffe
	s_cbranch_vccnz .LBB4_9
; %bb.27:                               ;   in Loop: Header=BB4_10 Depth=1
	global_store_b64 v[9:10], v[13:14], off
	s_branch .LBB4_9
.LBB4_28:
                                        ; implicit-def: $sgpr2
	v_mov_b32_e32 v25, s2
	s_branch .LBB4_2
.LBB4_29:
	s_or_b32 exec_lo, exec_lo, s14
	s_mov_b32 s2, 0
.LBB4_30:
	s_wait_alu 0xfffe
	s_and_not1_b32 vcc_lo, exec_lo, s2
	s_wait_alu 0xfffe
	s_cbranch_vccnz .LBB4_100
; %bb.31:
	v_cmp_lt_i64_e64 s2, s[10:11], 1
	s_and_b32 vcc_lo, exec_lo, s2
	s_wait_alu 0xfffe
	s_cbranch_vccnz .LBB4_100
; %bb.32:
	v_div_scale_f32 v1, null, v26, v26, v25
	s_load_b32 s1, s[0:1], 0xd64
	v_div_scale_f32 v6, vcc_lo, v25, v26, v25
	v_rcp_f32_e32 v5, v1
	v_xor_b32_e32 v3, 0x80000000, v1
	v_cmp_gt_i64_e64 s2, 0x10000, s[10:11]
	v_dual_mov_b32 v2, 0 :: v_dual_lshlrev_b32 v1, 1, v0
	v_cmp_gt_u64_e64 s3, 0x10000, s[10:11]
	v_cmp_neq_f32_e64 s0, 0, v23
	s_mov_b32 s15, 0
	s_and_b32 s2, s2, exec_lo
	s_cselect_b32 s9, s11, 0
	s_delay_alu instid0(TRANS32_DEP_1)
	v_fma_f32 v4, v3, v5, 1.0
	s_cselect_b32 s8, s10, 0x10000
	v_add_co_u32 v11, s4, s24, v1
	s_wait_alu 0xf1ff
	v_add_co_ci_u32_e64 v12, null, s25, 0, s4
	v_fmac_f32_e32 v5, v4, v5
	s_wait_kmcnt 0x0
	s_and_b32 s1, s1, 0xffff
	s_and_b32 s2, s3, exec_lo
	s_cselect_b32 s11, s11, 0
	s_cselect_b32 s10, s10, 0x10000
	v_mul_f32_e32 v7, v6, v5
	s_wait_alu 0xfffe
	s_lshl_b32 s2, s1, 1
	v_add_co_u32 v13, s4, s20, v1
	s_cmp_lg_u64 s[12:13], 0
	v_fma_f32 v4, v3, v7, v6
	s_wait_alu 0xf1ff
	v_add_co_ci_u32_e64 v14, null, s21, 0, s4
	v_add_co_u32 v15, s4, s26, v1
	s_delay_alu instid0(VALU_DEP_3) | instskip(SKIP_3) | instid1(VALU_DEP_2)
	v_fmac_f32_e32 v7, v4, v5
	s_cselect_b32 s18, -1, 0
	s_lshl_b32 s14, s1, 2
	v_add_co_ci_u32_e64 v16, null, s27, 0, s4
	v_fmac_f32_e32 v6, v3, v7
	v_mad_co_u64_u32 v[3:4], null, s1, 6, v[1:2]
	v_add_co_u32 v17, s3, s22, v1
	s_wait_alu 0xfffd
	s_delay_alu instid0(VALU_DEP_3)
	v_div_fmas_f32 v5, v6, v5, v7
	s_wait_alu 0xf1ff
	v_add_co_ci_u32_e64 v18, null, s23, 0, s3
	s_mul_i32 s3, s1, 3
	v_add_co_u32 v20, vcc_lo, s24, v3
	v_div_fixup_f32 v19, v5, v26, v25
	s_wait_alu 0xfffd
	v_add_co_ci_u32_e64 v25, null, s25, v4, vcc_lo
	v_add_co_u32 v26, vcc_lo, s20, v3
	s_wait_alu 0xfffd
	v_add_co_ci_u32_e64 v27, null, s21, v4, vcc_lo
	v_add_co_u32 v28, vcc_lo, s26, v3
	;; [unrolled: 3-line block ×3, first 2 shown]
	s_wait_alu 0xfffe
	v_add_co_u32 v3, s4, s14, v1
	s_wait_alu 0xfffd
	v_add_co_ci_u32_e64 v31, null, s23, v4, vcc_lo
	s_wait_alu 0xf1ff
	v_add_co_ci_u32_e64 v4, null, 0, 0, s4
	v_add_co_u32 v1, s3, s3, v0
	v_add_co_u32 v33, vcc_lo, s24, v3
	s_wait_alu 0xf1ff
	v_add_co_ci_u32_e64 v32, null, 0, 0, s3
	v_add_co_u32 v39, s3, v0, s1
	s_wait_alu 0xfffd
	v_add_co_ci_u32_e64 v34, null, s25, v4, vcc_lo
	v_add_co_u32 v35, vcc_lo, s20, v3
	s_wait_alu 0xfffd
	v_add_co_ci_u32_e64 v36, null, s21, v4, vcc_lo
	v_add_co_u32 v37, vcc_lo, s26, v3
	;; [unrolled: 3-line block ×3, first 2 shown]
	v_lshlrev_b32_e32 v3, 1, v39
	v_add_co_u32 v43, s2, s2, v0
	s_wait_alu 0xf1ff
	v_add_co_ci_u32_e64 v44, null, 0, 0, s2
	s_delay_alu instid0(VALU_DEP_3)
	v_add_co_u32 v45, s2, s24, v3
	s_wait_alu 0xf1ff
	v_add_co_ci_u32_e64 v46, null, s25, 0, s2
	v_add_co_u32 v47, s2, s20, v3
	s_wait_alu 0xf1ff
	v_add_co_ci_u32_e64 v48, null, s21, 0, s2
	;; [unrolled: 3-line block ×3, first 2 shown]
	v_add_co_u32 v51, s2, s22, v3
	s_wait_alu 0xfffd
	v_add_co_ci_u32_e64 v41, null, s23, v4, vcc_lo
	v_add_co_ci_u32_e64 v42, null, 0, 0, s3
	s_wait_alu 0xf1ff
	v_add_co_ci_u32_e64 v52, null, s23, 0, s2
	s_mov_b64 s[16:17], 0
	s_lshl_b32 s19, s1, 3
	s_branch .LBB4_34
.LBB4_33:                               ;   in Loop: Header=BB4_34 Depth=1
	s_wait_alu 0xfffe
	s_or_b32 exec_lo, exec_lo, s1
	v_add_co_u32 v11, vcc_lo, v11, s19
	s_wait_alu 0xfffd
	v_add_co_ci_u32_e64 v12, null, 0, v12, vcc_lo
	v_add_co_u32 v13, vcc_lo, v13, s19
	s_wait_alu 0xfffd
	v_add_co_ci_u32_e64 v14, null, 0, v14, vcc_lo
	;; [unrolled: 3-line block ×13, first 2 shown]
	v_add_co_u32 v47, vcc_lo, v47, s19
	s_add_nc_u64 s[16:17], s[16:17], s[14:15]
	s_wait_alu 0xfffd
	v_add_co_ci_u32_e64 v48, null, 0, v48, vcc_lo
	v_add_co_u32 v49, vcc_lo, v49, s19
	s_wait_alu 0xfffe
	v_cmp_ge_i64_e64 s1, s[16:17], s[8:9]
	s_wait_alu 0xfffd
	v_add_co_ci_u32_e64 v50, null, 0, v50, vcc_lo
	v_add_co_u32 v51, vcc_lo, v51, s19
	s_wait_alu 0xfffd
	v_add_co_ci_u32_e64 v52, null, 0, v52, vcc_lo
	s_and_b32 vcc_lo, exec_lo, s1
	s_wait_alu 0xfffe
	s_cbranch_vccnz .LBB4_100
.LBB4_34:                               ; =>This Inner Loop Header: Depth=1
	s_wait_alu 0xfffe
	v_add_co_u32 v3, s1, v0, s16
	s_wait_alu 0xf1ff
	v_add_co_ci_u32_e64 v4, null, 0, s17, s1
	v_mov_b32_e32 v5, 0
	v_dual_mov_b32 v6, 0 :: v_dual_mov_b32 v7, 0
	s_delay_alu instid0(VALU_DEP_3)
	v_cmp_gt_u64_e64 s1, s[10:11], v[3:4]
	v_mov_b32_e32 v3, 0
	v_mov_b32_e32 v4, 0
	;; [unrolled: 1-line block ×3, first 2 shown]
	s_and_saveexec_b32 s2, s1
	s_cbranch_execz .LBB4_36
; %bb.35:                               ;   in Loop: Header=BB4_34 Depth=1
	v_add_co_u32 v3, vcc_lo, v11, s6
	s_wait_alu 0xfffd
	v_add_co_ci_u32_e64 v4, null, s7, v12, vcc_lo
	v_add_co_u32 v7, vcc_lo, v13, s6
	s_wait_alu 0xfffd
	v_add_co_ci_u32_e64 v8, null, s7, v14, vcc_lo
	global_load_u16 v3, v[3:4], off
	global_load_u16 v4, v[7:8], off
	s_wait_loadcnt 0x1
	v_dual_mov_b32 v8, s15 :: v_dual_and_b32 v7, 0xffff, v3
	s_wait_loadcnt 0x0
	v_dual_mov_b32 v4, s15 :: v_dual_and_b32 v3, 0xffff, v4
.LBB4_36:                               ;   in Loop: Header=BB4_34 Depth=1
	s_wait_alu 0xfffe
	s_or_b32 exec_lo, exec_lo, s2
	v_mov_b32_e32 v9, 0
	v_mov_b32_e32 v10, 0
	s_and_saveexec_b32 s2, s1
	s_cbranch_execz .LBB4_38
; %bb.37:                               ;   in Loop: Header=BB4_34 Depth=1
	v_add_co_u32 v5, vcc_lo, v15, s6
	s_wait_alu 0xfffd
	v_add_co_ci_u32_e64 v6, null, s7, v16, vcc_lo
	v_add_co_u32 v9, vcc_lo, v17, s6
	s_wait_alu 0xfffd
	v_add_co_ci_u32_e64 v10, null, s7, v18, vcc_lo
	global_load_u16 v5, v[5:6], off
	global_load_u16 v6, v[9:10], off
	s_wait_loadcnt 0x1
	v_dual_mov_b32 v10, s15 :: v_dual_and_b32 v9, 0xffff, v5
	s_wait_loadcnt 0x0
	v_dual_mov_b32 v6, s15 :: v_dual_and_b32 v5, 0xffff, v6
.LBB4_38:                               ;   in Loop: Header=BB4_34 Depth=1
	s_wait_alu 0xfffe
	s_or_b32 exec_lo, exec_lo, s2
	v_add_co_u32 v53, vcc_lo, v39, s16
	s_wait_alu 0xfffd
	v_add_co_ci_u32_e64 v54, null, s17, v42, vcc_lo
	s_delay_alu instid0(VALU_DEP_1)
	v_cmp_gt_u64_e64 s2, s[10:11], v[53:54]
	s_and_saveexec_b32 s3, s2
	s_cbranch_execz .LBB4_40
; %bb.39:                               ;   in Loop: Header=BB4_34 Depth=1
	v_add_co_u32 v53, vcc_lo, v45, s6
	s_wait_alu 0xfffd
	v_add_co_ci_u32_e64 v54, null, s7, v46, vcc_lo
	v_add_co_u32 v55, vcc_lo, v47, s6
	s_wait_alu 0xfffd
	v_add_co_ci_u32_e64 v56, null, s7, v48, vcc_lo
	global_load_u16 v53, v[53:54], off
	global_load_u16 v54, v[55:56], off
	s_wait_loadcnt 0x1
	v_lshl_or_b32 v7, v53, 16, v7
	s_wait_loadcnt 0x0
	v_lshl_or_b32 v3, v54, 16, v3
.LBB4_40:                               ;   in Loop: Header=BB4_34 Depth=1
	s_wait_alu 0xfffe
	s_or_b32 exec_lo, exec_lo, s3
	s_and_saveexec_b32 s3, s2
	s_cbranch_execz .LBB4_42
; %bb.41:                               ;   in Loop: Header=BB4_34 Depth=1
	v_add_co_u32 v53, vcc_lo, v49, s6
	s_wait_alu 0xfffd
	v_add_co_ci_u32_e64 v54, null, s7, v50, vcc_lo
	v_add_co_u32 v55, vcc_lo, v51, s6
	s_wait_alu 0xfffd
	v_add_co_ci_u32_e64 v56, null, s7, v52, vcc_lo
	global_load_u16 v53, v[53:54], off
	global_load_u16 v54, v[55:56], off
	s_wait_loadcnt 0x1
	v_lshl_or_b32 v9, v53, 16, v9
	s_wait_loadcnt 0x0
	v_lshl_or_b32 v5, v54, 16, v5
.LBB4_42:                               ;   in Loop: Header=BB4_34 Depth=1
	s_wait_alu 0xfffe
	s_or_b32 exec_lo, exec_lo, s3
	v_add_co_u32 v53, vcc_lo, v43, s16
	s_wait_alu 0xfffd
	v_add_co_ci_u32_e64 v54, null, s17, v44, vcc_lo
	s_delay_alu instid0(VALU_DEP_1)
	v_cmp_gt_u64_e64 s3, s[10:11], v[53:54]
	v_cmp_le_u64_e32 vcc_lo, s[10:11], v[53:54]
	s_and_saveexec_b32 s4, vcc_lo
	s_wait_alu 0xfffe
	s_xor_b32 s4, exec_lo, s4
	s_wait_alu 0xfffe
	s_and_not1_saveexec_b32 s5, s4
	s_cbranch_execz .LBB4_44
; %bb.43:                               ;   in Loop: Header=BB4_34 Depth=1
	v_add_co_u32 v53, s4, v33, s6
	s_wait_alu 0xf1ff
	v_add_co_ci_u32_e64 v54, null, s7, v34, s4
	v_add_co_u32 v55, s4, v35, s6
	s_wait_alu 0xf1ff
	v_add_co_ci_u32_e64 v56, null, s7, v36, s4
	global_load_u16 v53, v[53:54], off
	global_load_u16 v54, v[55:56], off
	s_wait_loadcnt 0x1
	v_or_b32_e32 v8, v53, v8
	s_wait_loadcnt 0x0
	v_or_b32_e32 v4, v54, v4
.LBB4_44:                               ;   in Loop: Header=BB4_34 Depth=1
	s_wait_alu 0xfffe
	s_or_b32 exec_lo, exec_lo, s5
	s_and_saveexec_b32 s4, vcc_lo
	s_wait_alu 0xfffe
	s_xor_b32 s4, exec_lo, s4
	s_wait_alu 0xfffe
	s_and_not1_saveexec_b32 s4, s4
	s_cbranch_execz .LBB4_46
; %bb.45:                               ;   in Loop: Header=BB4_34 Depth=1
	v_add_co_u32 v53, vcc_lo, v37, s6
	s_wait_alu 0xfffd
	v_add_co_ci_u32_e64 v54, null, s7, v38, vcc_lo
	v_add_co_u32 v55, vcc_lo, v40, s6
	s_wait_alu 0xfffd
	v_add_co_ci_u32_e64 v56, null, s7, v41, vcc_lo
	global_load_u16 v53, v[53:54], off
	global_load_u16 v54, v[55:56], off
	s_wait_loadcnt 0x1
	v_or_b32_e32 v10, v53, v10
	s_wait_loadcnt 0x0
	v_or_b32_e32 v6, v54, v6
.LBB4_46:                               ;   in Loop: Header=BB4_34 Depth=1
	s_wait_alu 0xfffe
	s_or_b32 exec_lo, exec_lo, s4
	v_add_co_u32 v53, vcc_lo, v1, s16
	s_wait_alu 0xfffd
	v_add_co_ci_u32_e64 v54, null, s17, v32, vcc_lo
	s_delay_alu instid0(VALU_DEP_1)
	v_cmp_gt_u64_e64 s4, s[10:11], v[53:54]
	s_and_saveexec_b32 s5, s4
	s_cbranch_execnz .LBB4_87
; %bb.47:                               ;   in Loop: Header=BB4_34 Depth=1
	s_wait_alu 0xfffe
	s_or_b32 exec_lo, exec_lo, s5
	s_and_saveexec_b32 s5, s4
	s_cbranch_execnz .LBB4_88
.LBB4_48:                               ;   in Loop: Header=BB4_34 Depth=1
	s_wait_alu 0xfffe
	s_or_b32 exec_lo, exec_lo, s5
	v_lshlrev_b32_e32 v53, 16, v3
	s_and_not1_b32 vcc_lo, exec_lo, s18
	s_wait_alu 0xfffe
	s_cbranch_vccnz .LBB4_50
.LBB4_49:                               ;   in Loop: Header=BB4_34 Depth=1
	global_load_b32 v54, v2, s[12:13]
	s_wait_loadcnt 0x0
	v_div_scale_f32 v55, null, v54, v54, v53
	s_delay_alu instid0(VALU_DEP_1) | instskip(NEXT) | instid1(TRANS32_DEP_1)
	v_rcp_f32_e32 v56, v55
	v_fma_f32 v57, -v55, v56, 1.0
	s_delay_alu instid0(VALU_DEP_1) | instskip(SKIP_1) | instid1(VALU_DEP_1)
	v_fmac_f32_e32 v56, v57, v56
	v_div_scale_f32 v57, vcc_lo, v53, v54, v53
	v_mul_f32_e32 v58, v57, v56
	s_delay_alu instid0(VALU_DEP_1) | instskip(NEXT) | instid1(VALU_DEP_1)
	v_fma_f32 v59, -v55, v58, v57
	v_fmac_f32_e32 v58, v59, v56
	s_delay_alu instid0(VALU_DEP_1) | instskip(SKIP_1) | instid1(VALU_DEP_1)
	v_fma_f32 v55, -v55, v58, v57
	s_wait_alu 0xfffd
	v_div_fmas_f32 v55, v55, v56, v58
	s_delay_alu instid0(VALU_DEP_1)
	v_div_fixup_f32 v53, v55, v54, v53
.LBB4_50:                               ;   in Loop: Header=BB4_34 Depth=1
	s_and_not1_b32 vcc_lo, exec_lo, s18
	s_wait_alu 0xfffe
	s_cbranch_vccnz .LBB4_52
; %bb.51:                               ;   in Loop: Header=BB4_34 Depth=1
	s_delay_alu instid0(VALU_DEP_1) | instskip(SKIP_2) | instid1(VALU_DEP_3)
	v_bfe_u32 v54, v53, 16, 1
	v_cmp_o_f32_e32 vcc_lo, v53, v53
	v_and_b32_e32 v3, 0xffff0000, v3
	v_add3_u32 v54, v53, v54, 0x7fff
	s_delay_alu instid0(VALU_DEP_1) | instskip(SKIP_1) | instid1(VALU_DEP_1)
	v_lshrrev_b32_e32 v54, 16, v54
	s_wait_alu 0xfffd
	v_cndmask_b32_e32 v54, 0x7fc0, v54, vcc_lo
	s_delay_alu instid0(VALU_DEP_1)
	v_or_b32_e32 v3, v54, v3
.LBB4_52:                               ;   in Loop: Header=BB4_34 Depth=1
	s_delay_alu instid0(VALU_DEP_1)
	v_and_b32_e32 v55, 0xffff0000, v3
	s_and_not1_b32 vcc_lo, exec_lo, s18
	s_wait_alu 0xfffe
	s_cbranch_vccnz .LBB4_54
; %bb.53:                               ;   in Loop: Header=BB4_34 Depth=1
	global_load_b32 v54, v2, s[12:13]
	s_wait_loadcnt 0x0
	v_div_scale_f32 v56, null, v54, v54, v55
	s_delay_alu instid0(VALU_DEP_1) | instskip(NEXT) | instid1(TRANS32_DEP_1)
	v_rcp_f32_e32 v57, v56
	v_fma_f32 v58, -v56, v57, 1.0
	s_delay_alu instid0(VALU_DEP_1) | instskip(SKIP_1) | instid1(VALU_DEP_1)
	v_fmac_f32_e32 v57, v58, v57
	v_div_scale_f32 v58, vcc_lo, v55, v54, v55
	v_mul_f32_e32 v59, v58, v57
	s_delay_alu instid0(VALU_DEP_1) | instskip(NEXT) | instid1(VALU_DEP_1)
	v_fma_f32 v60, -v56, v59, v58
	v_fmac_f32_e32 v59, v60, v57
	s_delay_alu instid0(VALU_DEP_1) | instskip(SKIP_1) | instid1(VALU_DEP_1)
	v_fma_f32 v56, -v56, v59, v58
	s_wait_alu 0xfffd
	v_div_fmas_f32 v56, v56, v57, v59
	s_delay_alu instid0(VALU_DEP_1)
	v_div_fixup_f32 v55, v56, v54, v55
.LBB4_54:                               ;   in Loop: Header=BB4_34 Depth=1
	s_and_not1_b32 vcc_lo, exec_lo, s18
	s_wait_alu 0xfffe
	s_cbranch_vccnz .LBB4_56
; %bb.55:                               ;   in Loop: Header=BB4_34 Depth=1
	s_delay_alu instid0(VALU_DEP_1) | instskip(SKIP_2) | instid1(VALU_DEP_3)
	v_bfe_u32 v54, v55, 16, 1
	v_cmp_o_f32_e32 vcc_lo, v55, v55
	v_and_b32_e32 v3, 0xffff, v3
	v_add3_u32 v54, v55, v54, 0x7fff
	s_delay_alu instid0(VALU_DEP_1) | instskip(SKIP_1) | instid1(VALU_DEP_1)
	v_and_b32_e32 v54, 0xffff0000, v54
	s_wait_alu 0xfffd
	v_cndmask_b32_e32 v54, 0x7fc00000, v54, vcc_lo
	s_delay_alu instid0(VALU_DEP_1)
	v_or_b32_e32 v3, v54, v3
.LBB4_56:                               ;   in Loop: Header=BB4_34 Depth=1
	s_delay_alu instid0(VALU_DEP_1) | instskip(SKIP_1) | instid1(VALU_DEP_1)
	v_alignbit_b32 v54, v4, v3, 16
	s_and_not1_b32 vcc_lo, exec_lo, s18
	v_and_b32_e32 v58, 0xffff0000, v54
	s_wait_alu 0xfffe
	s_cbranch_vccnz .LBB4_58
; %bb.57:                               ;   in Loop: Header=BB4_34 Depth=1
	global_load_b32 v54, v2, s[12:13]
	s_wait_loadcnt 0x0
	v_div_scale_f32 v56, null, v54, v54, v58
	s_delay_alu instid0(VALU_DEP_1) | instskip(NEXT) | instid1(TRANS32_DEP_1)
	v_rcp_f32_e32 v57, v56
	v_fma_f32 v59, -v56, v57, 1.0
	s_delay_alu instid0(VALU_DEP_1) | instskip(SKIP_1) | instid1(VALU_DEP_1)
	v_fmac_f32_e32 v57, v59, v57
	v_div_scale_f32 v59, vcc_lo, v58, v54, v58
	v_mul_f32_e32 v60, v59, v57
	s_delay_alu instid0(VALU_DEP_1) | instskip(NEXT) | instid1(VALU_DEP_1)
	v_fma_f32 v61, -v56, v60, v59
	v_fmac_f32_e32 v60, v61, v57
	s_delay_alu instid0(VALU_DEP_1) | instskip(SKIP_1) | instid1(VALU_DEP_1)
	v_fma_f32 v56, -v56, v60, v59
	s_wait_alu 0xfffd
	v_div_fmas_f32 v56, v56, v57, v60
	s_delay_alu instid0(VALU_DEP_1)
	v_div_fixup_f32 v58, v56, v54, v58
.LBB4_58:                               ;   in Loop: Header=BB4_34 Depth=1
	s_and_not1_b32 vcc_lo, exec_lo, s18
	s_wait_alu 0xfffe
	s_cbranch_vccnz .LBB4_60
; %bb.59:                               ;   in Loop: Header=BB4_34 Depth=1
	s_delay_alu instid0(VALU_DEP_1) | instskip(SKIP_2) | instid1(VALU_DEP_3)
	v_bfe_u32 v54, v58, 16, 1
	v_cmp_o_f32_e32 vcc_lo, v58, v58
	v_and_b32_e32 v4, 0xffff0000, v4
	v_add3_u32 v54, v58, v54, 0x7fff
	s_delay_alu instid0(VALU_DEP_1) | instskip(SKIP_1) | instid1(VALU_DEP_1)
	v_lshrrev_b32_e32 v54, 16, v54
	s_wait_alu 0xfffd
	v_cndmask_b32_e32 v54, 0x7fc0, v54, vcc_lo
	s_delay_alu instid0(VALU_DEP_1)
	v_or_b32_e32 v4, v54, v4
.LBB4_60:                               ;   in Loop: Header=BB4_34 Depth=1
	s_delay_alu instid0(VALU_DEP_1)
	v_and_b32_e32 v57, 0xffff0000, v4
	s_and_not1_b32 vcc_lo, exec_lo, s18
	s_wait_alu 0xfffe
	s_cbranch_vccnz .LBB4_62
; %bb.61:                               ;   in Loop: Header=BB4_34 Depth=1
	global_load_b32 v54, v2, s[12:13]
	s_wait_loadcnt 0x0
	v_div_scale_f32 v56, null, v54, v54, v57
	s_delay_alu instid0(VALU_DEP_1) | instskip(NEXT) | instid1(TRANS32_DEP_1)
	v_rcp_f32_e32 v59, v56
	v_fma_f32 v60, -v56, v59, 1.0
	s_delay_alu instid0(VALU_DEP_1) | instskip(SKIP_1) | instid1(VALU_DEP_1)
	v_fmac_f32_e32 v59, v60, v59
	v_div_scale_f32 v60, vcc_lo, v57, v54, v57
	v_mul_f32_e32 v61, v60, v59
	s_delay_alu instid0(VALU_DEP_1) | instskip(NEXT) | instid1(VALU_DEP_1)
	v_fma_f32 v62, -v56, v61, v60
	v_fmac_f32_e32 v61, v62, v59
	s_delay_alu instid0(VALU_DEP_1) | instskip(SKIP_1) | instid1(VALU_DEP_1)
	v_fma_f32 v56, -v56, v61, v60
	s_wait_alu 0xfffd
	v_div_fmas_f32 v56, v56, v59, v61
	s_delay_alu instid0(VALU_DEP_1)
	v_div_fixup_f32 v57, v56, v54, v57
.LBB4_62:                               ;   in Loop: Header=BB4_34 Depth=1
	s_and_not1_b32 vcc_lo, exec_lo, s18
	s_wait_alu 0xfffe
	s_cbranch_vccnz .LBB4_64
; %bb.63:                               ;   in Loop: Header=BB4_34 Depth=1
	s_delay_alu instid0(VALU_DEP_1) | instskip(SKIP_2) | instid1(VALU_DEP_3)
	v_bfe_u32 v54, v57, 16, 1
	v_cmp_o_f32_e32 vcc_lo, v57, v57
	v_and_b32_e32 v4, 0xffff, v4
	v_add3_u32 v54, v57, v54, 0x7fff
	s_delay_alu instid0(VALU_DEP_1) | instskip(SKIP_1) | instid1(VALU_DEP_1)
	v_and_b32_e32 v54, 0xffff0000, v54
	s_wait_alu 0xfffd
	v_cndmask_b32_e32 v54, 0x7fc00000, v54, vcc_lo
	s_delay_alu instid0(VALU_DEP_1)
	v_or_b32_e32 v4, v54, v4
.LBB4_64:                               ;   in Loop: Header=BB4_34 Depth=1
	v_lshlrev_b32_e32 v56, 16, v7
	v_cndmask_b32_e64 v53, v53, -v53, s28
	v_lshlrev_b32_e32 v60, 16, v9
	s_delay_alu instid0(VALU_DEP_2) | instskip(NEXT) | instid1(VALU_DEP_1)
	v_fma_f32 v54, v23, v56, v53
	v_cndmask_b32_e64 v53, v53, v54, s0
	s_delay_alu instid0(VALU_DEP_1) | instskip(SKIP_2) | instid1(VALU_DEP_3)
	v_mul_f32_e32 v59, v53, v53
	v_fma_f32 v54, -v22, v53, v53
	v_lshlrev_b32_e32 v61, 16, v5
	v_fma_f32 v53, -v21, v59, v59
	s_delay_alu instid0(VALU_DEP_1)
	v_dual_fmac_f32 v54, v22, v60 :: v_dual_fmac_f32 v53, v21, v61
	s_and_saveexec_b32 s20, s1
	s_cbranch_execz .LBB4_66
; %bb.65:                               ;   in Loop: Header=BB4_34 Depth=1
	s_delay_alu instid0(VALU_DEP_1) | instskip(SKIP_2) | instid1(VALU_DEP_2)
	v_mul_f32_e32 v59, 0x4f800000, v53
	v_cmp_gt_f32_e32 vcc_lo, 0xf800000, v53
	s_wait_alu 0xfffd
	v_cndmask_b32_e32 v59, v53, v59, vcc_lo
	s_delay_alu instid0(VALU_DEP_1) | instskip(NEXT) | instid1(TRANS32_DEP_1)
	v_sqrt_f32_e32 v60, v59
	v_add_nc_u32_e32 v61, -1, v60
	v_add_nc_u32_e32 v62, 1, v60
	s_delay_alu instid0(VALU_DEP_2) | instskip(NEXT) | instid1(VALU_DEP_2)
	v_fma_f32 v63, -v61, v60, v59
	v_fma_f32 v64, -v62, v60, v59
	s_delay_alu instid0(VALU_DEP_2) | instskip(SKIP_1) | instid1(VALU_DEP_1)
	v_cmp_ge_f32_e64 s5, 0, v63
	s_wait_alu 0xf1ff
	v_cndmask_b32_e64 v60, v60, v61, s5
	s_delay_alu instid0(VALU_DEP_3) | instskip(SKIP_1) | instid1(VALU_DEP_1)
	v_cmp_lt_f32_e64 s5, 0, v64
	s_wait_alu 0xf1ff
	v_cndmask_b32_e64 v60, v60, v62, s5
	s_delay_alu instid0(VALU_DEP_1) | instskip(NEXT) | instid1(VALU_DEP_1)
	v_mul_f32_e32 v61, 0x37800000, v60
	v_cndmask_b32_e32 v60, v60, v61, vcc_lo
	v_cmp_class_f32_e64 vcc_lo, v59, 0x260
	s_wait_alu 0xfffd
	s_delay_alu instid0(VALU_DEP_2) | instskip(NEXT) | instid1(VALU_DEP_1)
	v_cndmask_b32_e32 v59, v60, v59, vcc_lo
	v_div_scale_f32 v60, null, s29, s29, v59
	v_div_scale_f32 v63, vcc_lo, v59, s29, v59
	s_delay_alu instid0(VALU_DEP_2) | instskip(NEXT) | instid1(TRANS32_DEP_1)
	v_rcp_f32_e32 v61, v60
	v_fma_f32 v62, -v60, v61, 1.0
	s_delay_alu instid0(VALU_DEP_1) | instskip(NEXT) | instid1(VALU_DEP_1)
	v_fmac_f32_e32 v61, v62, v61
	v_mul_f32_e32 v62, v63, v61
	s_delay_alu instid0(VALU_DEP_1) | instskip(NEXT) | instid1(VALU_DEP_1)
	v_fma_f32 v64, -v60, v62, v63
	v_fmac_f32_e32 v62, v64, v61
	s_delay_alu instid0(VALU_DEP_1) | instskip(SKIP_1) | instid1(VALU_DEP_1)
	v_fma_f32 v60, -v60, v62, v63
	s_wait_alu 0xfffd
	v_div_fmas_f32 v60, v60, v61, v62
	s_delay_alu instid0(VALU_DEP_1) | instskip(SKIP_1) | instid1(VALU_DEP_2)
	v_div_fixup_f32 v59, v60, s29, v59
	v_mul_f32_e32 v60, v19, v54
	v_add_f32_e32 v59, v59, v24
	s_delay_alu instid0(VALU_DEP_1) | instskip(SKIP_1) | instid1(VALU_DEP_2)
	v_div_scale_f32 v61, null, v59, v59, v60
	v_div_scale_f32 v64, vcc_lo, v60, v59, v60
	v_rcp_f32_e32 v62, v61
	s_delay_alu instid0(TRANS32_DEP_1) | instskip(NEXT) | instid1(VALU_DEP_1)
	v_fma_f32 v63, -v61, v62, 1.0
	v_fmac_f32_e32 v62, v63, v62
	s_delay_alu instid0(VALU_DEP_1) | instskip(NEXT) | instid1(VALU_DEP_1)
	v_mul_f32_e32 v63, v64, v62
	v_fma_f32 v65, -v61, v63, v64
	s_delay_alu instid0(VALU_DEP_1) | instskip(NEXT) | instid1(VALU_DEP_1)
	v_fmac_f32_e32 v63, v65, v62
	v_fma_f32 v61, -v61, v63, v64
	s_wait_alu 0xfffd
	s_delay_alu instid0(VALU_DEP_1) | instskip(NEXT) | instid1(VALU_DEP_1)
	v_div_fmas_f32 v61, v61, v62, v63
	v_div_fixup_f32 v59, v61, v59, v60
	s_delay_alu instid0(VALU_DEP_1) | instskip(NEXT) | instid1(VALU_DEP_1)
	v_sub_f32_e32 v56, v56, v59
	v_bfe_u32 v59, v56, 16, 1
	v_cmp_o_f32_e32 vcc_lo, v56, v56
	s_delay_alu instid0(VALU_DEP_2) | instskip(NEXT) | instid1(VALU_DEP_1)
	v_add3_u32 v59, v56, v59, 0x7fff
	v_lshrrev_b32_e32 v59, 16, v59
	s_wait_alu 0xfffd
	s_delay_alu instid0(VALU_DEP_1)
	v_cndmask_b32_e32 v56, 0x7fc0, v59, vcc_lo
	v_add_co_u32 v59, vcc_lo, v11, s6
	s_wait_alu 0xfffd
	v_add_co_ci_u32_e64 v60, null, s7, v12, vcc_lo
	global_store_b16 v[59:60], v56, off
.LBB4_66:                               ;   in Loop: Header=BB4_34 Depth=1
	s_wait_alu 0xfffe
	s_or_b32 exec_lo, exec_lo, s20
	v_cndmask_b32_e64 v55, v55, -v55, s28
	v_and_b32_e32 v61, 0xffff0000, v9
	v_and_b32_e32 v59, 0xffff0000, v7
	;; [unrolled: 1-line block ×3, first 2 shown]
	s_delay_alu instid0(VALU_DEP_2) | instskip(NEXT) | instid1(VALU_DEP_1)
	v_fma_f32 v56, v23, v59, v55
	v_cndmask_b32_e64 v55, v55, v56, s0
	s_delay_alu instid0(VALU_DEP_1) | instskip(SKIP_1) | instid1(VALU_DEP_2)
	v_mul_f32_e32 v60, v55, v55
	v_fma_f32 v56, -v22, v55, v55
	v_fma_f32 v55, -v21, v60, v60
	s_delay_alu instid0(VALU_DEP_1)
	v_dual_fmac_f32 v56, v22, v61 :: v_dual_fmac_f32 v55, v21, v62
	s_and_saveexec_b32 s20, s2
	s_cbranch_execz .LBB4_68
; %bb.67:                               ;   in Loop: Header=BB4_34 Depth=1
	s_delay_alu instid0(VALU_DEP_1) | instskip(SKIP_2) | instid1(VALU_DEP_2)
	v_mul_f32_e32 v60, 0x4f800000, v55
	v_cmp_gt_f32_e32 vcc_lo, 0xf800000, v55
	s_wait_alu 0xfffd
	v_cndmask_b32_e32 v60, v55, v60, vcc_lo
	s_delay_alu instid0(VALU_DEP_1) | instskip(NEXT) | instid1(TRANS32_DEP_1)
	v_sqrt_f32_e32 v61, v60
	v_add_nc_u32_e32 v62, -1, v61
	v_add_nc_u32_e32 v63, 1, v61
	s_delay_alu instid0(VALU_DEP_2) | instskip(NEXT) | instid1(VALU_DEP_2)
	v_fma_f32 v64, -v62, v61, v60
	v_fma_f32 v65, -v63, v61, v60
	s_delay_alu instid0(VALU_DEP_2) | instskip(SKIP_1) | instid1(VALU_DEP_1)
	v_cmp_ge_f32_e64 s5, 0, v64
	s_wait_alu 0xf1ff
	v_cndmask_b32_e64 v61, v61, v62, s5
	s_delay_alu instid0(VALU_DEP_3) | instskip(SKIP_1) | instid1(VALU_DEP_1)
	v_cmp_lt_f32_e64 s5, 0, v65
	s_wait_alu 0xf1ff
	v_cndmask_b32_e64 v61, v61, v63, s5
	s_delay_alu instid0(VALU_DEP_1) | instskip(NEXT) | instid1(VALU_DEP_1)
	v_mul_f32_e32 v62, 0x37800000, v61
	v_cndmask_b32_e32 v61, v61, v62, vcc_lo
	v_cmp_class_f32_e64 vcc_lo, v60, 0x260
	s_wait_alu 0xfffd
	s_delay_alu instid0(VALU_DEP_2) | instskip(NEXT) | instid1(VALU_DEP_1)
	v_cndmask_b32_e32 v60, v61, v60, vcc_lo
	v_div_scale_f32 v61, null, s29, s29, v60
	v_div_scale_f32 v64, vcc_lo, v60, s29, v60
	s_delay_alu instid0(VALU_DEP_2) | instskip(NEXT) | instid1(TRANS32_DEP_1)
	v_rcp_f32_e32 v62, v61
	v_fma_f32 v63, -v61, v62, 1.0
	s_delay_alu instid0(VALU_DEP_1) | instskip(NEXT) | instid1(VALU_DEP_1)
	v_fmac_f32_e32 v62, v63, v62
	v_mul_f32_e32 v63, v64, v62
	s_delay_alu instid0(VALU_DEP_1) | instskip(NEXT) | instid1(VALU_DEP_1)
	v_fma_f32 v65, -v61, v63, v64
	v_fmac_f32_e32 v63, v65, v62
	s_delay_alu instid0(VALU_DEP_1) | instskip(SKIP_1) | instid1(VALU_DEP_1)
	v_fma_f32 v61, -v61, v63, v64
	s_wait_alu 0xfffd
	v_div_fmas_f32 v61, v61, v62, v63
	s_delay_alu instid0(VALU_DEP_1) | instskip(SKIP_1) | instid1(VALU_DEP_2)
	v_div_fixup_f32 v60, v61, s29, v60
	v_mul_f32_e32 v61, v19, v56
	v_add_f32_e32 v60, v60, v24
	s_delay_alu instid0(VALU_DEP_1) | instskip(SKIP_1) | instid1(VALU_DEP_2)
	v_div_scale_f32 v62, null, v60, v60, v61
	v_div_scale_f32 v65, vcc_lo, v61, v60, v61
	v_rcp_f32_e32 v63, v62
	s_delay_alu instid0(TRANS32_DEP_1) | instskip(NEXT) | instid1(VALU_DEP_1)
	v_fma_f32 v64, -v62, v63, 1.0
	v_fmac_f32_e32 v63, v64, v63
	s_delay_alu instid0(VALU_DEP_1) | instskip(NEXT) | instid1(VALU_DEP_1)
	v_mul_f32_e32 v64, v65, v63
	v_fma_f32 v66, -v62, v64, v65
	s_delay_alu instid0(VALU_DEP_1) | instskip(NEXT) | instid1(VALU_DEP_1)
	v_fmac_f32_e32 v64, v66, v63
	v_fma_f32 v62, -v62, v64, v65
	s_wait_alu 0xfffd
	s_delay_alu instid0(VALU_DEP_1) | instskip(NEXT) | instid1(VALU_DEP_1)
	v_div_fmas_f32 v62, v62, v63, v64
	v_div_fixup_f32 v60, v62, v60, v61
	s_delay_alu instid0(VALU_DEP_1) | instskip(NEXT) | instid1(VALU_DEP_1)
	v_sub_f32_e32 v59, v59, v60
	v_bfe_u32 v60, v59, 16, 1
	v_cmp_o_f32_e32 vcc_lo, v59, v59
	s_delay_alu instid0(VALU_DEP_2) | instskip(NEXT) | instid1(VALU_DEP_1)
	v_add3_u32 v60, v59, v60, 0x7fff
	v_lshrrev_b32_e32 v60, 16, v60
	s_wait_alu 0xfffd
	s_delay_alu instid0(VALU_DEP_1)
	v_cndmask_b32_e32 v61, 0x7fc0, v60, vcc_lo
	v_add_co_u32 v59, vcc_lo, v45, s6
	s_wait_alu 0xfffd
	v_add_co_ci_u32_e64 v60, null, s7, v46, vcc_lo
	global_store_b16 v[59:60], v61, off
.LBB4_68:                               ;   in Loop: Header=BB4_34 Depth=1
	s_wait_alu 0xfffe
	s_or_b32 exec_lo, exec_lo, s20
	v_alignbit_b32 v7, v8, v7, 16
	v_alignbit_b32 v9, v10, v9, 16
	;; [unrolled: 1-line block ×3, first 2 shown]
	s_delay_alu instid0(VALU_DEP_3) | instskip(SKIP_1) | instid1(VALU_DEP_3)
	v_and_b32_e32 v59, 0xffff0000, v7
	v_cndmask_b32_e64 v7, v58, -v58, s28
	v_and_b32_e32 v60, 0xffff0000, v5
	v_and_b32_e32 v9, 0xffff0000, v9
	s_delay_alu instid0(VALU_DEP_3) | instskip(NEXT) | instid1(VALU_DEP_1)
	v_fma_f32 v58, v23, v59, v7
	v_cndmask_b32_e64 v7, v7, v58, s0
	s_delay_alu instid0(VALU_DEP_1) | instskip(SKIP_1) | instid1(VALU_DEP_2)
	v_mul_f32_e32 v58, v7, v7
	v_fma_f32 v7, -v22, v7, v7
	v_fma_f32 v5, -v21, v58, v58
	s_delay_alu instid0(VALU_DEP_2) | instskip(NEXT) | instid1(VALU_DEP_2)
	v_fmac_f32_e32 v7, v22, v9
	v_fmac_f32_e32 v5, v21, v60
	s_and_saveexec_b32 s20, s3
	s_cbranch_execz .LBB4_70
; %bb.69:                               ;   in Loop: Header=BB4_34 Depth=1
	s_delay_alu instid0(VALU_DEP_1) | instskip(SKIP_2) | instid1(VALU_DEP_2)
	v_mul_f32_e32 v9, 0x4f800000, v5
	v_cmp_gt_f32_e32 vcc_lo, 0xf800000, v5
	s_wait_alu 0xfffd
	v_cndmask_b32_e32 v9, v5, v9, vcc_lo
	s_delay_alu instid0(VALU_DEP_1) | instskip(NEXT) | instid1(TRANS32_DEP_1)
	v_sqrt_f32_e32 v58, v9
	v_add_nc_u32_e32 v60, -1, v58
	v_add_nc_u32_e32 v61, 1, v58
	s_delay_alu instid0(VALU_DEP_2) | instskip(NEXT) | instid1(VALU_DEP_2)
	v_fma_f32 v62, -v60, v58, v9
	v_fma_f32 v63, -v61, v58, v9
	s_delay_alu instid0(VALU_DEP_2) | instskip(SKIP_1) | instid1(VALU_DEP_1)
	v_cmp_ge_f32_e64 s5, 0, v62
	s_wait_alu 0xf1ff
	v_cndmask_b32_e64 v58, v58, v60, s5
	s_delay_alu instid0(VALU_DEP_3) | instskip(SKIP_1) | instid1(VALU_DEP_1)
	v_cmp_lt_f32_e64 s5, 0, v63
	s_wait_alu 0xf1ff
	v_cndmask_b32_e64 v58, v58, v61, s5
	s_delay_alu instid0(VALU_DEP_1) | instskip(NEXT) | instid1(VALU_DEP_1)
	v_mul_f32_e32 v60, 0x37800000, v58
	v_cndmask_b32_e32 v58, v58, v60, vcc_lo
	v_cmp_class_f32_e64 vcc_lo, v9, 0x260
	s_wait_alu 0xfffd
	s_delay_alu instid0(VALU_DEP_2) | instskip(NEXT) | instid1(VALU_DEP_1)
	v_cndmask_b32_e32 v9, v58, v9, vcc_lo
	v_div_scale_f32 v58, null, s29, s29, v9
	s_delay_alu instid0(VALU_DEP_1) | instskip(NEXT) | instid1(TRANS32_DEP_1)
	v_rcp_f32_e32 v60, v58
	v_fma_f32 v61, -v58, v60, 1.0
	s_delay_alu instid0(VALU_DEP_1) | instskip(SKIP_1) | instid1(VALU_DEP_1)
	v_fmac_f32_e32 v60, v61, v60
	v_div_scale_f32 v62, vcc_lo, v9, s29, v9
	v_mul_f32_e32 v61, v62, v60
	s_delay_alu instid0(VALU_DEP_1) | instskip(NEXT) | instid1(VALU_DEP_1)
	v_fma_f32 v63, -v58, v61, v62
	v_fmac_f32_e32 v61, v63, v60
	s_delay_alu instid0(VALU_DEP_1) | instskip(SKIP_1) | instid1(VALU_DEP_1)
	v_fma_f32 v58, -v58, v61, v62
	s_wait_alu 0xfffd
	v_div_fmas_f32 v58, v58, v60, v61
	s_delay_alu instid0(VALU_DEP_1) | instskip(NEXT) | instid1(VALU_DEP_1)
	v_div_fixup_f32 v9, v58, s29, v9
	v_dual_mul_f32 v58, v19, v7 :: v_dual_add_f32 v9, v9, v24
	s_delay_alu instid0(VALU_DEP_1) | instskip(SKIP_1) | instid1(VALU_DEP_2)
	v_div_scale_f32 v60, null, v9, v9, v58
	v_div_scale_f32 v63, vcc_lo, v58, v9, v58
	v_rcp_f32_e32 v61, v60
	s_delay_alu instid0(TRANS32_DEP_1) | instskip(NEXT) | instid1(VALU_DEP_1)
	v_fma_f32 v62, -v60, v61, 1.0
	v_fmac_f32_e32 v61, v62, v61
	s_delay_alu instid0(VALU_DEP_1) | instskip(NEXT) | instid1(VALU_DEP_1)
	v_mul_f32_e32 v62, v63, v61
	v_fma_f32 v64, -v60, v62, v63
	s_delay_alu instid0(VALU_DEP_1) | instskip(NEXT) | instid1(VALU_DEP_1)
	v_fmac_f32_e32 v62, v64, v61
	v_fma_f32 v60, -v60, v62, v63
	s_wait_alu 0xfffd
	s_delay_alu instid0(VALU_DEP_1) | instskip(NEXT) | instid1(VALU_DEP_1)
	v_div_fmas_f32 v60, v60, v61, v62
	v_div_fixup_f32 v9, v60, v9, v58
	s_delay_alu instid0(VALU_DEP_1) | instskip(NEXT) | instid1(VALU_DEP_1)
	v_sub_f32_e32 v9, v59, v9
	v_bfe_u32 v58, v9, 16, 1
	v_cmp_o_f32_e32 vcc_lo, v9, v9
	s_delay_alu instid0(VALU_DEP_2) | instskip(NEXT) | instid1(VALU_DEP_1)
	v_add3_u32 v58, v9, v58, 0x7fff
	v_lshrrev_b32_e32 v58, 16, v58
	s_wait_alu 0xfffd
	s_delay_alu instid0(VALU_DEP_1)
	v_cndmask_b32_e32 v9, 0x7fc0, v58, vcc_lo
	v_add_co_u32 v58, vcc_lo, v33, s6
	s_wait_alu 0xfffd
	v_add_co_ci_u32_e64 v59, null, s7, v34, vcc_lo
	global_store_b16 v[58:59], v9, off
.LBB4_70:                               ;   in Loop: Header=BB4_34 Depth=1
	s_wait_alu 0xfffe
	s_or_b32 exec_lo, exec_lo, s20
	v_and_b32_e32 v10, 0xffff0000, v10
	v_and_b32_e32 v9, 0xffff0000, v8
	v_cndmask_b32_e64 v8, v57, -v57, s28
	v_and_b32_e32 v58, 0xffff0000, v6
	s_delay_alu instid0(VALU_DEP_2) | instskip(NEXT) | instid1(VALU_DEP_1)
	v_fma_f32 v57, v23, v9, v8
	v_cndmask_b32_e64 v8, v8, v57, s0
	s_delay_alu instid0(VALU_DEP_1) | instskip(SKIP_1) | instid1(VALU_DEP_2)
	v_mul_f32_e32 v57, v8, v8
	v_fma_f32 v8, -v22, v8, v8
	v_fma_f32 v6, -v21, v57, v57
	s_delay_alu instid0(VALU_DEP_2) | instskip(NEXT) | instid1(VALU_DEP_2)
	v_fmac_f32_e32 v8, v22, v10
	v_fmac_f32_e32 v6, v21, v58
	s_and_saveexec_b32 s20, s4
	s_cbranch_execz .LBB4_72
; %bb.71:                               ;   in Loop: Header=BB4_34 Depth=1
	s_delay_alu instid0(VALU_DEP_1) | instskip(SKIP_2) | instid1(VALU_DEP_2)
	v_mul_f32_e32 v10, 0x4f800000, v6
	v_cmp_gt_f32_e32 vcc_lo, 0xf800000, v6
	s_wait_alu 0xfffd
	v_cndmask_b32_e32 v10, v6, v10, vcc_lo
	s_delay_alu instid0(VALU_DEP_1) | instskip(NEXT) | instid1(TRANS32_DEP_1)
	v_sqrt_f32_e32 v57, v10
	v_add_nc_u32_e32 v58, -1, v57
	v_add_nc_u32_e32 v59, 1, v57
	s_delay_alu instid0(VALU_DEP_2) | instskip(NEXT) | instid1(VALU_DEP_2)
	v_fma_f32 v60, -v58, v57, v10
	v_fma_f32 v61, -v59, v57, v10
	s_delay_alu instid0(VALU_DEP_2) | instskip(SKIP_1) | instid1(VALU_DEP_1)
	v_cmp_ge_f32_e64 s5, 0, v60
	s_wait_alu 0xf1ff
	v_cndmask_b32_e64 v57, v57, v58, s5
	s_delay_alu instid0(VALU_DEP_3) | instskip(SKIP_1) | instid1(VALU_DEP_1)
	v_cmp_lt_f32_e64 s5, 0, v61
	s_wait_alu 0xf1ff
	v_cndmask_b32_e64 v57, v57, v59, s5
	s_delay_alu instid0(VALU_DEP_1) | instskip(NEXT) | instid1(VALU_DEP_1)
	v_mul_f32_e32 v58, 0x37800000, v57
	v_cndmask_b32_e32 v57, v57, v58, vcc_lo
	v_cmp_class_f32_e64 vcc_lo, v10, 0x260
	s_wait_alu 0xfffd
	s_delay_alu instid0(VALU_DEP_2) | instskip(NEXT) | instid1(VALU_DEP_1)
	v_cndmask_b32_e32 v10, v57, v10, vcc_lo
	v_div_scale_f32 v57, null, s29, s29, v10
	v_div_scale_f32 v60, vcc_lo, v10, s29, v10
	s_delay_alu instid0(VALU_DEP_2) | instskip(NEXT) | instid1(TRANS32_DEP_1)
	v_rcp_f32_e32 v58, v57
	v_fma_f32 v59, -v57, v58, 1.0
	s_delay_alu instid0(VALU_DEP_1) | instskip(NEXT) | instid1(VALU_DEP_1)
	v_fmac_f32_e32 v58, v59, v58
	v_mul_f32_e32 v59, v60, v58
	s_delay_alu instid0(VALU_DEP_1) | instskip(NEXT) | instid1(VALU_DEP_1)
	v_fma_f32 v61, -v57, v59, v60
	v_fmac_f32_e32 v59, v61, v58
	s_delay_alu instid0(VALU_DEP_1) | instskip(SKIP_1) | instid1(VALU_DEP_1)
	v_fma_f32 v57, -v57, v59, v60
	s_wait_alu 0xfffd
	v_div_fmas_f32 v57, v57, v58, v59
	s_delay_alu instid0(VALU_DEP_1) | instskip(SKIP_1) | instid1(VALU_DEP_2)
	v_div_fixup_f32 v10, v57, s29, v10
	v_mul_f32_e32 v57, v19, v8
	v_add_f32_e32 v10, v10, v24
	s_delay_alu instid0(VALU_DEP_1) | instskip(SKIP_1) | instid1(VALU_DEP_2)
	v_div_scale_f32 v58, null, v10, v10, v57
	v_div_scale_f32 v61, vcc_lo, v57, v10, v57
	v_rcp_f32_e32 v59, v58
	s_delay_alu instid0(TRANS32_DEP_1) | instskip(NEXT) | instid1(VALU_DEP_1)
	v_fma_f32 v60, -v58, v59, 1.0
	v_fmac_f32_e32 v59, v60, v59
	s_delay_alu instid0(VALU_DEP_1) | instskip(NEXT) | instid1(VALU_DEP_1)
	v_mul_f32_e32 v60, v61, v59
	v_fma_f32 v62, -v58, v60, v61
	s_delay_alu instid0(VALU_DEP_1) | instskip(NEXT) | instid1(VALU_DEP_1)
	v_fmac_f32_e32 v60, v62, v59
	v_fma_f32 v58, -v58, v60, v61
	s_wait_alu 0xfffd
	s_delay_alu instid0(VALU_DEP_1) | instskip(NEXT) | instid1(VALU_DEP_1)
	v_div_fmas_f32 v58, v58, v59, v60
	v_div_fixup_f32 v10, v58, v10, v57
	s_delay_alu instid0(VALU_DEP_1) | instskip(NEXT) | instid1(VALU_DEP_1)
	v_sub_f32_e32 v9, v9, v10
	v_bfe_u32 v10, v9, 16, 1
	v_cmp_o_f32_e32 vcc_lo, v9, v9
	s_delay_alu instid0(VALU_DEP_2) | instskip(NEXT) | instid1(VALU_DEP_1)
	v_add3_u32 v10, v9, v10, 0x7fff
	v_lshrrev_b32_e32 v10, 16, v10
	s_wait_alu 0xfffd
	s_delay_alu instid0(VALU_DEP_1)
	v_cndmask_b32_e32 v57, 0x7fc0, v10, vcc_lo
	v_add_co_u32 v9, vcc_lo, v20, s6
	s_wait_alu 0xfffd
	v_add_co_ci_u32_e64 v10, null, s7, v25, vcc_lo
	global_store_b16 v[9:10], v57, off
.LBB4_72:                               ;   in Loop: Header=BB4_34 Depth=1
	s_wait_alu 0xfffe
	s_or_b32 exec_lo, exec_lo, s20
	s_delay_alu instid0(SALU_CYCLE_1)
	s_and_not1_b32 vcc_lo, exec_lo, s18
	s_wait_alu 0xfffe
	s_cbranch_vccnz .LBB4_79
; %bb.73:                               ;   in Loop: Header=BB4_34 Depth=1
	s_and_saveexec_b32 s5, s1
	s_cbranch_execnz .LBB4_97
; %bb.74:                               ;   in Loop: Header=BB4_34 Depth=1
	s_wait_alu 0xfffe
	s_or_b32 exec_lo, exec_lo, s5
	s_and_saveexec_b32 s5, s2
	s_cbranch_execnz .LBB4_98
.LBB4_75:                               ;   in Loop: Header=BB4_34 Depth=1
	s_wait_alu 0xfffe
	s_or_b32 exec_lo, exec_lo, s5
	s_and_saveexec_b32 s5, s3
	s_cbranch_execnz .LBB4_99
.LBB4_76:                               ;   in Loop: Header=BB4_34 Depth=1
	s_wait_alu 0xfffe
	s_or_b32 exec_lo, exec_lo, s5
	s_and_saveexec_b32 s5, s4
	s_cbranch_execz .LBB4_78
.LBB4_77:                               ;   in Loop: Header=BB4_34 Depth=1
	v_add_co_u32 v9, vcc_lo, v26, s6
	s_wait_alu 0xfffd
	v_add_co_ci_u32_e64 v10, null, s7, v27, vcc_lo
	global_store_d16_hi_b16 v[9:10], v4, off
.LBB4_78:                               ;   in Loop: Header=BB4_34 Depth=1
	s_wait_alu 0xfffe
	s_or_b32 exec_lo, exec_lo, s5
.LBB4_79:                               ;   in Loop: Header=BB4_34 Depth=1
	s_and_saveexec_b32 s5, s1
	s_cbranch_execnz .LBB4_89
; %bb.80:                               ;   in Loop: Header=BB4_34 Depth=1
	s_wait_alu 0xfffe
	s_or_b32 exec_lo, exec_lo, s5
	s_and_saveexec_b32 s5, s2
	s_cbranch_execnz .LBB4_90
.LBB4_81:                               ;   in Loop: Header=BB4_34 Depth=1
	s_wait_alu 0xfffe
	s_or_b32 exec_lo, exec_lo, s5
	s_and_saveexec_b32 s5, s3
	s_cbranch_execnz .LBB4_91
.LBB4_82:                               ;   in Loop: Header=BB4_34 Depth=1
	s_wait_alu 0xfffe
	s_or_b32 exec_lo, exec_lo, s5
	s_and_saveexec_b32 s5, s4
	s_cbranch_execnz .LBB4_92
.LBB4_83:                               ;   in Loop: Header=BB4_34 Depth=1
	s_wait_alu 0xfffe
	s_or_b32 exec_lo, exec_lo, s5
	s_and_saveexec_b32 s5, s1
	s_cbranch_execnz .LBB4_93
.LBB4_84:                               ;   in Loop: Header=BB4_34 Depth=1
	s_wait_alu 0xfffe
	s_or_b32 exec_lo, exec_lo, s5
	s_and_saveexec_b32 s1, s2
	s_cbranch_execnz .LBB4_94
.LBB4_85:                               ;   in Loop: Header=BB4_34 Depth=1
	s_wait_alu 0xfffe
	s_or_b32 exec_lo, exec_lo, s1
	s_and_saveexec_b32 s1, s3
	s_cbranch_execnz .LBB4_95
.LBB4_86:                               ;   in Loop: Header=BB4_34 Depth=1
	s_wait_alu 0xfffe
	s_or_b32 exec_lo, exec_lo, s1
	s_and_saveexec_b32 s1, s4
	s_cbranch_execz .LBB4_33
	s_branch .LBB4_96
.LBB4_87:                               ;   in Loop: Header=BB4_34 Depth=1
	v_add_co_u32 v53, vcc_lo, v20, s6
	s_wait_alu 0xfffd
	v_add_co_ci_u32_e64 v54, null, s7, v25, vcc_lo
	v_add_co_u32 v55, vcc_lo, v26, s6
	v_dual_mov_b32 v57, 0 :: v_dual_mov_b32 v58, 0
	s_wait_alu 0xfffd
	v_add_co_ci_u32_e64 v56, null, s7, v27, vcc_lo
	global_load_d16_hi_b16 v57, v[53:54], off
	global_load_d16_hi_b16 v58, v[55:56], off
	v_add_co_u32 v3, vcc_lo, 0, v3
	s_wait_loadcnt 0x1
	v_or_b32_e32 v8, v57, v8
	s_wait_loadcnt 0x0
	s_wait_alu 0xfffd
	v_add_co_ci_u32_e64 v4, null, v58, v4, vcc_lo
	s_wait_alu 0xfffe
	s_or_b32 exec_lo, exec_lo, s5
	s_and_saveexec_b32 s5, s4
	s_cbranch_execz .LBB4_48
.LBB4_88:                               ;   in Loop: Header=BB4_34 Depth=1
	v_add_co_u32 v53, vcc_lo, v28, s6
	s_wait_alu 0xfffd
	v_add_co_ci_u32_e64 v54, null, s7, v29, vcc_lo
	v_add_co_u32 v55, vcc_lo, v30, s6
	v_dual_mov_b32 v57, 0 :: v_dual_mov_b32 v58, 0
	s_wait_alu 0xfffd
	v_add_co_ci_u32_e64 v56, null, s7, v31, vcc_lo
	global_load_d16_hi_b16 v57, v[53:54], off
	global_load_d16_hi_b16 v58, v[55:56], off
	v_add_co_u32 v5, vcc_lo, 0, v5
	s_wait_loadcnt 0x1
	v_or_b32_e32 v10, v57, v10
	s_wait_loadcnt 0x0
	s_wait_alu 0xfffd
	v_add_co_ci_u32_e64 v6, null, v58, v6, vcc_lo
	s_wait_alu 0xfffe
	s_or_b32 exec_lo, exec_lo, s5
	v_lshlrev_b32_e32 v53, 16, v3
	s_and_not1_b32 vcc_lo, exec_lo, s18
	s_wait_alu 0xfffe
	s_cbranch_vccz .LBB4_49
	s_branch .LBB4_50
.LBB4_89:                               ;   in Loop: Header=BB4_34 Depth=1
	v_bfe_u32 v3, v54, 16, 1
	v_cmp_o_f32_e32 vcc_lo, v54, v54
	s_delay_alu instid0(VALU_DEP_2) | instskip(NEXT) | instid1(VALU_DEP_1)
	v_add3_u32 v3, v54, v3, 0x7fff
	v_lshrrev_b32_e32 v3, 16, v3
	s_wait_alu 0xfffd
	s_delay_alu instid0(VALU_DEP_1)
	v_cndmask_b32_e32 v9, 0x7fc0, v3, vcc_lo
	v_add_co_u32 v3, vcc_lo, v15, s6
	s_wait_alu 0xfffd
	v_add_co_ci_u32_e64 v4, null, s7, v16, vcc_lo
	global_store_b16 v[3:4], v9, off
	s_wait_alu 0xfffe
	s_or_b32 exec_lo, exec_lo, s5
	s_and_saveexec_b32 s5, s2
	s_cbranch_execz .LBB4_81
.LBB4_90:                               ;   in Loop: Header=BB4_34 Depth=1
	v_bfe_u32 v3, v56, 16, 1
	v_cmp_o_f32_e32 vcc_lo, v56, v56
	s_delay_alu instid0(VALU_DEP_2) | instskip(NEXT) | instid1(VALU_DEP_1)
	v_add3_u32 v3, v56, v3, 0x7fff
	v_lshrrev_b32_e32 v3, 16, v3
	s_wait_alu 0xfffd
	s_delay_alu instid0(VALU_DEP_1)
	v_cndmask_b32_e32 v9, 0x7fc0, v3, vcc_lo
	v_add_co_u32 v3, vcc_lo, v49, s6
	s_wait_alu 0xfffd
	v_add_co_ci_u32_e64 v4, null, s7, v50, vcc_lo
	global_store_b16 v[3:4], v9, off
	s_wait_alu 0xfffe
	s_or_b32 exec_lo, exec_lo, s5
	s_and_saveexec_b32 s5, s3
	s_cbranch_execz .LBB4_82
.LBB4_91:                               ;   in Loop: Header=BB4_34 Depth=1
	v_bfe_u32 v3, v7, 16, 1
	v_cmp_o_f32_e32 vcc_lo, v7, v7
	s_delay_alu instid0(VALU_DEP_2) | instskip(NEXT) | instid1(VALU_DEP_1)
	v_add3_u32 v3, v7, v3, 0x7fff
	v_lshrrev_b32_e32 v3, 16, v3
	s_wait_alu 0xfffd
	s_delay_alu instid0(VALU_DEP_1)
	v_cndmask_b32_e32 v7, 0x7fc0, v3, vcc_lo
	v_add_co_u32 v3, vcc_lo, v37, s6
	s_wait_alu 0xfffd
	v_add_co_ci_u32_e64 v4, null, s7, v38, vcc_lo
	global_store_b16 v[3:4], v7, off
	s_wait_alu 0xfffe
	s_or_b32 exec_lo, exec_lo, s5
	s_and_saveexec_b32 s5, s4
	s_cbranch_execz .LBB4_83
.LBB4_92:                               ;   in Loop: Header=BB4_34 Depth=1
	v_bfe_u32 v3, v8, 16, 1
	v_cmp_o_f32_e32 vcc_lo, v8, v8
	s_delay_alu instid0(VALU_DEP_2) | instskip(NEXT) | instid1(VALU_DEP_1)
	v_add3_u32 v3, v8, v3, 0x7fff
	v_lshrrev_b32_e32 v3, 16, v3
	s_wait_alu 0xfffd
	s_delay_alu instid0(VALU_DEP_1)
	v_cndmask_b32_e32 v7, 0x7fc0, v3, vcc_lo
	v_add_co_u32 v3, vcc_lo, v28, s6
	s_wait_alu 0xfffd
	v_add_co_ci_u32_e64 v4, null, s7, v29, vcc_lo
	global_store_b16 v[3:4], v7, off
	s_wait_alu 0xfffe
	s_or_b32 exec_lo, exec_lo, s5
	s_and_saveexec_b32 s5, s1
	s_cbranch_execz .LBB4_84
.LBB4_93:                               ;   in Loop: Header=BB4_34 Depth=1
	v_bfe_u32 v3, v53, 16, 1
	v_cmp_o_f32_e32 vcc_lo, v53, v53
	s_delay_alu instid0(VALU_DEP_2) | instskip(NEXT) | instid1(VALU_DEP_1)
	v_add3_u32 v3, v53, v3, 0x7fff
	v_lshrrev_b32_e32 v3, 16, v3
	s_wait_alu 0xfffd
	s_delay_alu instid0(VALU_DEP_1)
	v_cndmask_b32_e32 v7, 0x7fc0, v3, vcc_lo
	v_add_co_u32 v3, vcc_lo, v17, s6
	s_wait_alu 0xfffd
	v_add_co_ci_u32_e64 v4, null, s7, v18, vcc_lo
	global_store_b16 v[3:4], v7, off
	s_wait_alu 0xfffe
	s_or_b32 exec_lo, exec_lo, s5
	s_and_saveexec_b32 s1, s2
	s_cbranch_execz .LBB4_85
.LBB4_94:                               ;   in Loop: Header=BB4_34 Depth=1
	v_bfe_u32 v3, v55, 16, 1
	v_cmp_o_f32_e32 vcc_lo, v55, v55
	s_delay_alu instid0(VALU_DEP_2) | instskip(NEXT) | instid1(VALU_DEP_1)
	v_add3_u32 v3, v55, v3, 0x7fff
	v_lshrrev_b32_e32 v3, 16, v3
	s_wait_alu 0xfffd
	s_delay_alu instid0(VALU_DEP_1)
	v_cndmask_b32_e32 v7, 0x7fc0, v3, vcc_lo
	v_add_co_u32 v3, vcc_lo, v51, s6
	s_wait_alu 0xfffd
	v_add_co_ci_u32_e64 v4, null, s7, v52, vcc_lo
	global_store_b16 v[3:4], v7, off
	s_wait_alu 0xfffe
	s_or_b32 exec_lo, exec_lo, s1
	s_and_saveexec_b32 s1, s3
	s_cbranch_execz .LBB4_86
.LBB4_95:                               ;   in Loop: Header=BB4_34 Depth=1
	v_bfe_u32 v3, v5, 16, 1
	v_cmp_o_f32_e32 vcc_lo, v5, v5
	s_delay_alu instid0(VALU_DEP_2) | instskip(NEXT) | instid1(VALU_DEP_1)
	v_add3_u32 v3, v5, v3, 0x7fff
	v_lshrrev_b32_e32 v3, 16, v3
	s_wait_alu 0xfffd
	s_delay_alu instid0(VALU_DEP_1)
	v_cndmask_b32_e32 v5, 0x7fc0, v3, vcc_lo
	v_add_co_u32 v3, vcc_lo, v40, s6
	s_wait_alu 0xfffd
	v_add_co_ci_u32_e64 v4, null, s7, v41, vcc_lo
	global_store_b16 v[3:4], v5, off
	s_wait_alu 0xfffe
	s_or_b32 exec_lo, exec_lo, s1
	s_and_saveexec_b32 s1, s4
	s_cbranch_execz .LBB4_33
.LBB4_96:                               ;   in Loop: Header=BB4_34 Depth=1
	v_bfe_u32 v3, v6, 16, 1
	v_cmp_o_f32_e32 vcc_lo, v6, v6
	s_delay_alu instid0(VALU_DEP_2) | instskip(NEXT) | instid1(VALU_DEP_1)
	v_add3_u32 v3, v6, v3, 0x7fff
	v_lshrrev_b32_e32 v3, 16, v3
	s_wait_alu 0xfffd
	s_delay_alu instid0(VALU_DEP_1)
	v_cndmask_b32_e32 v5, 0x7fc0, v3, vcc_lo
	v_add_co_u32 v3, vcc_lo, v30, s6
	s_wait_alu 0xfffd
	v_add_co_ci_u32_e64 v4, null, s7, v31, vcc_lo
	global_store_b16 v[3:4], v5, off
	s_branch .LBB4_33
.LBB4_97:                               ;   in Loop: Header=BB4_34 Depth=1
	v_add_co_u32 v9, vcc_lo, v13, s6
	s_wait_alu 0xfffd
	v_add_co_ci_u32_e64 v10, null, s7, v14, vcc_lo
	global_store_b16 v[9:10], v3, off
	s_wait_alu 0xfffe
	s_or_b32 exec_lo, exec_lo, s5
	s_and_saveexec_b32 s5, s2
	s_cbranch_execz .LBB4_75
.LBB4_98:                               ;   in Loop: Header=BB4_34 Depth=1
	v_add_co_u32 v9, vcc_lo, v47, s6
	s_wait_alu 0xfffd
	v_add_co_ci_u32_e64 v10, null, s7, v48, vcc_lo
	global_store_d16_hi_b16 v[9:10], v3, off
	s_wait_alu 0xfffe
	s_or_b32 exec_lo, exec_lo, s5
	s_and_saveexec_b32 s5, s3
	s_cbranch_execz .LBB4_76
.LBB4_99:                               ;   in Loop: Header=BB4_34 Depth=1
	v_add_co_u32 v9, vcc_lo, v35, s6
	s_wait_alu 0xfffd
	v_add_co_ci_u32_e64 v10, null, s7, v36, vcc_lo
	global_store_b16 v[9:10], v4, off
	s_wait_alu 0xfffe
	s_or_b32 exec_lo, exec_lo, s5
	s_and_saveexec_b32 s5, s4
	s_cbranch_execnz .LBB4_77
	s_branch .LBB4_78
.LBB4_100:
	s_endpgm
	.section	.rodata,"a",@progbits
	.p2align	6, 0x0
	.amdhsa_kernel _ZN2at6native12_GLOBAL__N_125multi_tensor_apply_kernelINS1_32FusedOptimizerTensorListMetadataILi4EEENS1_20FusedAdamMathFunctorIN3c108BFloat16ELi4ELNS0_9ADAM_MODEE0ELb0EEEJPKfdddddbSB_SB_EEEvT_T0_DpT1_
		.amdhsa_group_segment_fixed_size 0
		.amdhsa_private_segment_fixed_size 0
		.amdhsa_kernarg_size 3672
		.amdhsa_user_sgpr_count 2
		.amdhsa_user_sgpr_dispatch_ptr 0
		.amdhsa_user_sgpr_queue_ptr 0
		.amdhsa_user_sgpr_kernarg_segment_ptr 1
		.amdhsa_user_sgpr_dispatch_id 0
		.amdhsa_user_sgpr_private_segment_size 0
		.amdhsa_wavefront_size32 1
		.amdhsa_uses_dynamic_stack 0
		.amdhsa_enable_private_segment 0
		.amdhsa_system_sgpr_workgroup_id_x 1
		.amdhsa_system_sgpr_workgroup_id_y 0
		.amdhsa_system_sgpr_workgroup_id_z 0
		.amdhsa_system_sgpr_workgroup_info 0
		.amdhsa_system_vgpr_workitem_id 0
		.amdhsa_next_free_vgpr 67
		.amdhsa_next_free_sgpr 31
		.amdhsa_reserve_vcc 1
		.amdhsa_float_round_mode_32 0
		.amdhsa_float_round_mode_16_64 0
		.amdhsa_float_denorm_mode_32 3
		.amdhsa_float_denorm_mode_16_64 3
		.amdhsa_fp16_overflow 0
		.amdhsa_workgroup_processor_mode 1
		.amdhsa_memory_ordered 1
		.amdhsa_forward_progress 1
		.amdhsa_inst_pref_size 107
		.amdhsa_round_robin_scheduling 0
		.amdhsa_exception_fp_ieee_invalid_op 0
		.amdhsa_exception_fp_denorm_src 0
		.amdhsa_exception_fp_ieee_div_zero 0
		.amdhsa_exception_fp_ieee_overflow 0
		.amdhsa_exception_fp_ieee_underflow 0
		.amdhsa_exception_fp_ieee_inexact 0
		.amdhsa_exception_int_div_zero 0
	.end_amdhsa_kernel
	.section	.text._ZN2at6native12_GLOBAL__N_125multi_tensor_apply_kernelINS1_32FusedOptimizerTensorListMetadataILi4EEENS1_20FusedAdamMathFunctorIN3c108BFloat16ELi4ELNS0_9ADAM_MODEE0ELb0EEEJPKfdddddbSB_SB_EEEvT_T0_DpT1_,"axG",@progbits,_ZN2at6native12_GLOBAL__N_125multi_tensor_apply_kernelINS1_32FusedOptimizerTensorListMetadataILi4EEENS1_20FusedAdamMathFunctorIN3c108BFloat16ELi4ELNS0_9ADAM_MODEE0ELb0EEEJPKfdddddbSB_SB_EEEvT_T0_DpT1_,comdat
.Lfunc_end4:
	.size	_ZN2at6native12_GLOBAL__N_125multi_tensor_apply_kernelINS1_32FusedOptimizerTensorListMetadataILi4EEENS1_20FusedAdamMathFunctorIN3c108BFloat16ELi4ELNS0_9ADAM_MODEE0ELb0EEEJPKfdddddbSB_SB_EEEvT_T0_DpT1_, .Lfunc_end4-_ZN2at6native12_GLOBAL__N_125multi_tensor_apply_kernelINS1_32FusedOptimizerTensorListMetadataILi4EEENS1_20FusedAdamMathFunctorIN3c108BFloat16ELi4ELNS0_9ADAM_MODEE0ELb0EEEJPKfdddddbSB_SB_EEEvT_T0_DpT1_
                                        ; -- End function
	.set _ZN2at6native12_GLOBAL__N_125multi_tensor_apply_kernelINS1_32FusedOptimizerTensorListMetadataILi4EEENS1_20FusedAdamMathFunctorIN3c108BFloat16ELi4ELNS0_9ADAM_MODEE0ELb0EEEJPKfdddddbSB_SB_EEEvT_T0_DpT1_.num_vgpr, 67
	.set _ZN2at6native12_GLOBAL__N_125multi_tensor_apply_kernelINS1_32FusedOptimizerTensorListMetadataILi4EEENS1_20FusedAdamMathFunctorIN3c108BFloat16ELi4ELNS0_9ADAM_MODEE0ELb0EEEJPKfdddddbSB_SB_EEEvT_T0_DpT1_.num_agpr, 0
	.set _ZN2at6native12_GLOBAL__N_125multi_tensor_apply_kernelINS1_32FusedOptimizerTensorListMetadataILi4EEENS1_20FusedAdamMathFunctorIN3c108BFloat16ELi4ELNS0_9ADAM_MODEE0ELb0EEEJPKfdddddbSB_SB_EEEvT_T0_DpT1_.numbered_sgpr, 31
	.set _ZN2at6native12_GLOBAL__N_125multi_tensor_apply_kernelINS1_32FusedOptimizerTensorListMetadataILi4EEENS1_20FusedAdamMathFunctorIN3c108BFloat16ELi4ELNS0_9ADAM_MODEE0ELb0EEEJPKfdddddbSB_SB_EEEvT_T0_DpT1_.num_named_barrier, 0
	.set _ZN2at6native12_GLOBAL__N_125multi_tensor_apply_kernelINS1_32FusedOptimizerTensorListMetadataILi4EEENS1_20FusedAdamMathFunctorIN3c108BFloat16ELi4ELNS0_9ADAM_MODEE0ELb0EEEJPKfdddddbSB_SB_EEEvT_T0_DpT1_.private_seg_size, 0
	.set _ZN2at6native12_GLOBAL__N_125multi_tensor_apply_kernelINS1_32FusedOptimizerTensorListMetadataILi4EEENS1_20FusedAdamMathFunctorIN3c108BFloat16ELi4ELNS0_9ADAM_MODEE0ELb0EEEJPKfdddddbSB_SB_EEEvT_T0_DpT1_.uses_vcc, 1
	.set _ZN2at6native12_GLOBAL__N_125multi_tensor_apply_kernelINS1_32FusedOptimizerTensorListMetadataILi4EEENS1_20FusedAdamMathFunctorIN3c108BFloat16ELi4ELNS0_9ADAM_MODEE0ELb0EEEJPKfdddddbSB_SB_EEEvT_T0_DpT1_.uses_flat_scratch, 0
	.set _ZN2at6native12_GLOBAL__N_125multi_tensor_apply_kernelINS1_32FusedOptimizerTensorListMetadataILi4EEENS1_20FusedAdamMathFunctorIN3c108BFloat16ELi4ELNS0_9ADAM_MODEE0ELb0EEEJPKfdddddbSB_SB_EEEvT_T0_DpT1_.has_dyn_sized_stack, 0
	.set _ZN2at6native12_GLOBAL__N_125multi_tensor_apply_kernelINS1_32FusedOptimizerTensorListMetadataILi4EEENS1_20FusedAdamMathFunctorIN3c108BFloat16ELi4ELNS0_9ADAM_MODEE0ELb0EEEJPKfdddddbSB_SB_EEEvT_T0_DpT1_.has_recursion, 0
	.set _ZN2at6native12_GLOBAL__N_125multi_tensor_apply_kernelINS1_32FusedOptimizerTensorListMetadataILi4EEENS1_20FusedAdamMathFunctorIN3c108BFloat16ELi4ELNS0_9ADAM_MODEE0ELb0EEEJPKfdddddbSB_SB_EEEvT_T0_DpT1_.has_indirect_call, 0
	.section	.AMDGPU.csdata,"",@progbits
; Kernel info:
; codeLenInByte = 13628
; TotalNumSgprs: 33
; NumVgprs: 67
; ScratchSize: 0
; MemoryBound: 0
; FloatMode: 240
; IeeeMode: 1
; LDSByteSize: 0 bytes/workgroup (compile time only)
; SGPRBlocks: 0
; VGPRBlocks: 8
; NumSGPRsForWavesPerEU: 33
; NumVGPRsForWavesPerEU: 67
; Occupancy: 16
; WaveLimiterHint : 0
; COMPUTE_PGM_RSRC2:SCRATCH_EN: 0
; COMPUTE_PGM_RSRC2:USER_SGPR: 2
; COMPUTE_PGM_RSRC2:TRAP_HANDLER: 0
; COMPUTE_PGM_RSRC2:TGID_X_EN: 1
; COMPUTE_PGM_RSRC2:TGID_Y_EN: 0
; COMPUTE_PGM_RSRC2:TGID_Z_EN: 0
; COMPUTE_PGM_RSRC2:TIDIG_COMP_CNT: 0
	.section	.AMDGPU.gpr_maximums,"",@progbits
	.set amdgpu.max_num_vgpr, 0
	.set amdgpu.max_num_agpr, 0
	.set amdgpu.max_num_sgpr, 0
	.section	.AMDGPU.csdata,"",@progbits
	.type	__hip_cuid_54c65fb46970acdc,@object ; @__hip_cuid_54c65fb46970acdc
	.section	.bss,"aw",@nobits
	.globl	__hip_cuid_54c65fb46970acdc
__hip_cuid_54c65fb46970acdc:
	.byte	0                               ; 0x0
	.size	__hip_cuid_54c65fb46970acdc, 1

	.ident	"AMD clang version 22.0.0git (https://github.com/RadeonOpenCompute/llvm-project roc-7.2.4 26084 f58b06dce1f9c15707c5f808fd002e18c2accf7e)"
	.section	".note.GNU-stack","",@progbits
	.addrsig
	.addrsig_sym __hip_cuid_54c65fb46970acdc
	.amdgpu_metadata
---
amdhsa.kernels:
  - .args:
      - .offset:         0
        .size:           3336
        .value_kind:     by_value
      - .offset:         3336
        .size:           1
        .value_kind:     by_value
      - .address_space:  global
        .offset:         3344
        .size:           8
        .value_kind:     global_buffer
      - .offset:         3352
        .size:           8
        .value_kind:     by_value
      - .offset:         3360
        .size:           8
        .value_kind:     by_value
      - .offset:         3368
        .size:           8
        .value_kind:     by_value
      - .offset:         3376
        .size:           8
        .value_kind:     by_value
      - .offset:         3384
        .size:           8
        .value_kind:     by_value
      - .offset:         3392
        .size:           1
        .value_kind:     by_value
      - .address_space:  global
        .offset:         3400
        .size:           8
        .value_kind:     global_buffer
      - .address_space:  global
        .offset:         3408
        .size:           8
        .value_kind:     global_buffer
      - .offset:         3416
        .size:           4
        .value_kind:     hidden_block_count_x
      - .offset:         3420
        .size:           4
        .value_kind:     hidden_block_count_y
      - .offset:         3424
        .size:           4
        .value_kind:     hidden_block_count_z
      - .offset:         3428
        .size:           2
        .value_kind:     hidden_group_size_x
      - .offset:         3430
        .size:           2
        .value_kind:     hidden_group_size_y
      - .offset:         3432
        .size:           2
        .value_kind:     hidden_group_size_z
      - .offset:         3434
        .size:           2
        .value_kind:     hidden_remainder_x
      - .offset:         3436
        .size:           2
        .value_kind:     hidden_remainder_y
      - .offset:         3438
        .size:           2
        .value_kind:     hidden_remainder_z
      - .offset:         3456
        .size:           8
        .value_kind:     hidden_global_offset_x
      - .offset:         3464
        .size:           8
        .value_kind:     hidden_global_offset_y
      - .offset:         3472
        .size:           8
        .value_kind:     hidden_global_offset_z
      - .offset:         3480
        .size:           2
        .value_kind:     hidden_grid_dims
    .group_segment_fixed_size: 0
    .kernarg_segment_align: 8
    .kernarg_segment_size: 3672
    .language:       OpenCL C
    .language_version:
      - 2
      - 0
    .max_flat_workgroup_size: 512
    .name:           _ZN2at6native12_GLOBAL__N_125multi_tensor_apply_kernelINS1_32FusedOptimizerTensorListMetadataILi4EEENS1_22FusedAdamMathFunctorMPIfffN3c108BFloat16ES7_fLi4ELNS0_9ADAM_MODEE0ELb0EEEJPKfdddddbSB_SB_EEEvT_T0_DpT1_
    .private_segment_fixed_size: 0
    .sgpr_count:     85
    .sgpr_spill_count: 0
    .symbol:         _ZN2at6native12_GLOBAL__N_125multi_tensor_apply_kernelINS1_32FusedOptimizerTensorListMetadataILi4EEENS1_22FusedAdamMathFunctorMPIfffN3c108BFloat16ES7_fLi4ELNS0_9ADAM_MODEE0ELb0EEEJPKfdddddbSB_SB_EEEvT_T0_DpT1_.kd
    .uniform_work_group_size: 1
    .uses_dynamic_stack: false
    .vgpr_count:     69
    .vgpr_spill_count: 0
    .wavefront_size: 32
    .workgroup_processor_mode: 1
  - .args:
      - .offset:         0
        .size:           3336
        .value_kind:     by_value
      - .offset:         3336
        .size:           1
        .value_kind:     by_value
      - .address_space:  global
        .offset:         3344
        .size:           8
        .value_kind:     global_buffer
      - .offset:         3352
        .size:           8
        .value_kind:     by_value
      - .offset:         3360
        .size:           8
        .value_kind:     by_value
      - .offset:         3368
        .size:           8
        .value_kind:     by_value
      - .offset:         3376
        .size:           8
        .value_kind:     by_value
      - .offset:         3384
        .size:           8
        .value_kind:     by_value
      - .offset:         3392
        .size:           1
        .value_kind:     by_value
      - .address_space:  global
        .offset:         3400
        .size:           8
        .value_kind:     global_buffer
      - .address_space:  global
        .offset:         3408
        .size:           8
        .value_kind:     global_buffer
      - .offset:         3416
        .size:           4
        .value_kind:     hidden_block_count_x
      - .offset:         3420
        .size:           4
        .value_kind:     hidden_block_count_y
      - .offset:         3424
        .size:           4
        .value_kind:     hidden_block_count_z
      - .offset:         3428
        .size:           2
        .value_kind:     hidden_group_size_x
      - .offset:         3430
        .size:           2
        .value_kind:     hidden_group_size_y
      - .offset:         3432
        .size:           2
        .value_kind:     hidden_group_size_z
      - .offset:         3434
        .size:           2
        .value_kind:     hidden_remainder_x
      - .offset:         3436
        .size:           2
        .value_kind:     hidden_remainder_y
      - .offset:         3438
        .size:           2
        .value_kind:     hidden_remainder_z
      - .offset:         3456
        .size:           8
        .value_kind:     hidden_global_offset_x
      - .offset:         3464
        .size:           8
        .value_kind:     hidden_global_offset_y
      - .offset:         3472
        .size:           8
        .value_kind:     hidden_global_offset_z
      - .offset:         3480
        .size:           2
        .value_kind:     hidden_grid_dims
    .group_segment_fixed_size: 0
    .kernarg_segment_align: 8
    .kernarg_segment_size: 3672
    .language:       OpenCL C
    .language_version:
      - 2
      - 0
    .max_flat_workgroup_size: 512
    .name:           _ZN2at6native12_GLOBAL__N_125multi_tensor_apply_kernelINS1_32FusedOptimizerTensorListMetadataILi4EEENS1_20FusedAdamMathFunctorIdLi4ELNS0_9ADAM_MODEE0ELb0EEEJPKfdddddbS9_S9_EEEvT_T0_DpT1_
    .private_segment_fixed_size: 0
    .sgpr_count:     80
    .sgpr_spill_count: 0
    .symbol:         _ZN2at6native12_GLOBAL__N_125multi_tensor_apply_kernelINS1_32FusedOptimizerTensorListMetadataILi4EEENS1_20FusedAdamMathFunctorIdLi4ELNS0_9ADAM_MODEE0ELb0EEEJPKfdddddbS9_S9_EEEvT_T0_DpT1_.kd
    .uniform_work_group_size: 1
    .uses_dynamic_stack: false
    .vgpr_count:     93
    .vgpr_spill_count: 0
    .wavefront_size: 32
    .workgroup_processor_mode: 1
  - .args:
      - .offset:         0
        .size:           3336
        .value_kind:     by_value
      - .offset:         3336
        .size:           1
        .value_kind:     by_value
      - .address_space:  global
        .offset:         3344
        .size:           8
        .value_kind:     global_buffer
      - .offset:         3352
        .size:           8
        .value_kind:     by_value
      - .offset:         3360
        .size:           8
        .value_kind:     by_value
      - .offset:         3368
        .size:           8
        .value_kind:     by_value
      - .offset:         3376
        .size:           8
        .value_kind:     by_value
      - .offset:         3384
        .size:           8
        .value_kind:     by_value
      - .offset:         3392
        .size:           1
        .value_kind:     by_value
      - .address_space:  global
        .offset:         3400
        .size:           8
        .value_kind:     global_buffer
      - .address_space:  global
        .offset:         3408
        .size:           8
        .value_kind:     global_buffer
      - .offset:         3416
        .size:           4
        .value_kind:     hidden_block_count_x
      - .offset:         3420
        .size:           4
        .value_kind:     hidden_block_count_y
      - .offset:         3424
        .size:           4
        .value_kind:     hidden_block_count_z
      - .offset:         3428
        .size:           2
        .value_kind:     hidden_group_size_x
      - .offset:         3430
        .size:           2
        .value_kind:     hidden_group_size_y
      - .offset:         3432
        .size:           2
        .value_kind:     hidden_group_size_z
      - .offset:         3434
        .size:           2
        .value_kind:     hidden_remainder_x
      - .offset:         3436
        .size:           2
        .value_kind:     hidden_remainder_y
      - .offset:         3438
        .size:           2
        .value_kind:     hidden_remainder_z
      - .offset:         3456
        .size:           8
        .value_kind:     hidden_global_offset_x
      - .offset:         3464
        .size:           8
        .value_kind:     hidden_global_offset_y
      - .offset:         3472
        .size:           8
        .value_kind:     hidden_global_offset_z
      - .offset:         3480
        .size:           2
        .value_kind:     hidden_grid_dims
    .group_segment_fixed_size: 0
    .kernarg_segment_align: 8
    .kernarg_segment_size: 3672
    .language:       OpenCL C
    .language_version:
      - 2
      - 0
    .max_flat_workgroup_size: 512
    .name:           _ZN2at6native12_GLOBAL__N_125multi_tensor_apply_kernelINS1_32FusedOptimizerTensorListMetadataILi4EEENS1_20FusedAdamMathFunctorIfLi4ELNS0_9ADAM_MODEE0ELb0EEEJPKfdddddbS9_S9_EEEvT_T0_DpT1_
    .private_segment_fixed_size: 0
    .sgpr_count:     39
    .sgpr_spill_count: 0
    .symbol:         _ZN2at6native12_GLOBAL__N_125multi_tensor_apply_kernelINS1_32FusedOptimizerTensorListMetadataILi4EEENS1_20FusedAdamMathFunctorIfLi4ELNS0_9ADAM_MODEE0ELb0EEEJPKfdddddbS9_S9_EEEvT_T0_DpT1_.kd
    .uniform_work_group_size: 1
    .uses_dynamic_stack: false
    .vgpr_count:     60
    .vgpr_spill_count: 0
    .wavefront_size: 32
    .workgroup_processor_mode: 1
  - .args:
      - .offset:         0
        .size:           3336
        .value_kind:     by_value
      - .offset:         3336
        .size:           1
        .value_kind:     by_value
      - .address_space:  global
        .offset:         3344
        .size:           8
        .value_kind:     global_buffer
      - .offset:         3352
        .size:           8
        .value_kind:     by_value
      - .offset:         3360
        .size:           8
        .value_kind:     by_value
      - .offset:         3368
        .size:           8
        .value_kind:     by_value
      - .offset:         3376
        .size:           8
        .value_kind:     by_value
      - .offset:         3384
        .size:           8
        .value_kind:     by_value
      - .offset:         3392
        .size:           1
        .value_kind:     by_value
      - .address_space:  global
        .offset:         3400
        .size:           8
        .value_kind:     global_buffer
      - .address_space:  global
        .offset:         3408
        .size:           8
        .value_kind:     global_buffer
      - .offset:         3416
        .size:           4
        .value_kind:     hidden_block_count_x
      - .offset:         3420
        .size:           4
        .value_kind:     hidden_block_count_y
      - .offset:         3424
        .size:           4
        .value_kind:     hidden_block_count_z
      - .offset:         3428
        .size:           2
        .value_kind:     hidden_group_size_x
      - .offset:         3430
        .size:           2
        .value_kind:     hidden_group_size_y
      - .offset:         3432
        .size:           2
        .value_kind:     hidden_group_size_z
      - .offset:         3434
        .size:           2
        .value_kind:     hidden_remainder_x
      - .offset:         3436
        .size:           2
        .value_kind:     hidden_remainder_y
      - .offset:         3438
        .size:           2
        .value_kind:     hidden_remainder_z
      - .offset:         3456
        .size:           8
        .value_kind:     hidden_global_offset_x
      - .offset:         3464
        .size:           8
        .value_kind:     hidden_global_offset_y
      - .offset:         3472
        .size:           8
        .value_kind:     hidden_global_offset_z
      - .offset:         3480
        .size:           2
        .value_kind:     hidden_grid_dims
    .group_segment_fixed_size: 0
    .kernarg_segment_align: 8
    .kernarg_segment_size: 3672
    .language:       OpenCL C
    .language_version:
      - 2
      - 0
    .max_flat_workgroup_size: 512
    .name:           _ZN2at6native12_GLOBAL__N_125multi_tensor_apply_kernelINS1_32FusedOptimizerTensorListMetadataILi4EEENS1_20FusedAdamMathFunctorIN3c104HalfELi4ELNS0_9ADAM_MODEE0ELb0EEEJPKfdddddbSB_SB_EEEvT_T0_DpT1_
    .private_segment_fixed_size: 0
    .sgpr_count:     41
    .sgpr_spill_count: 0
    .symbol:         _ZN2at6native12_GLOBAL__N_125multi_tensor_apply_kernelINS1_32FusedOptimizerTensorListMetadataILi4EEENS1_20FusedAdamMathFunctorIN3c104HalfELi4ELNS0_9ADAM_MODEE0ELb0EEEJPKfdddddbSB_SB_EEEvT_T0_DpT1_.kd
    .uniform_work_group_size: 1
    .uses_dynamic_stack: false
    .vgpr_count:     68
    .vgpr_spill_count: 0
    .wavefront_size: 32
    .workgroup_processor_mode: 1
  - .args:
      - .offset:         0
        .size:           3336
        .value_kind:     by_value
      - .offset:         3336
        .size:           1
        .value_kind:     by_value
      - .address_space:  global
        .offset:         3344
        .size:           8
        .value_kind:     global_buffer
      - .offset:         3352
        .size:           8
        .value_kind:     by_value
      - .offset:         3360
        .size:           8
        .value_kind:     by_value
      - .offset:         3368
        .size:           8
        .value_kind:     by_value
      - .offset:         3376
        .size:           8
        .value_kind:     by_value
      - .offset:         3384
        .size:           8
        .value_kind:     by_value
      - .offset:         3392
        .size:           1
        .value_kind:     by_value
      - .address_space:  global
        .offset:         3400
        .size:           8
        .value_kind:     global_buffer
      - .address_space:  global
        .offset:         3408
        .size:           8
        .value_kind:     global_buffer
      - .offset:         3416
        .size:           4
        .value_kind:     hidden_block_count_x
      - .offset:         3420
        .size:           4
        .value_kind:     hidden_block_count_y
      - .offset:         3424
        .size:           4
        .value_kind:     hidden_block_count_z
      - .offset:         3428
        .size:           2
        .value_kind:     hidden_group_size_x
      - .offset:         3430
        .size:           2
        .value_kind:     hidden_group_size_y
      - .offset:         3432
        .size:           2
        .value_kind:     hidden_group_size_z
      - .offset:         3434
        .size:           2
        .value_kind:     hidden_remainder_x
      - .offset:         3436
        .size:           2
        .value_kind:     hidden_remainder_y
      - .offset:         3438
        .size:           2
        .value_kind:     hidden_remainder_z
      - .offset:         3456
        .size:           8
        .value_kind:     hidden_global_offset_x
      - .offset:         3464
        .size:           8
        .value_kind:     hidden_global_offset_y
      - .offset:         3472
        .size:           8
        .value_kind:     hidden_global_offset_z
      - .offset:         3480
        .size:           2
        .value_kind:     hidden_grid_dims
    .group_segment_fixed_size: 0
    .kernarg_segment_align: 8
    .kernarg_segment_size: 3672
    .language:       OpenCL C
    .language_version:
      - 2
      - 0
    .max_flat_workgroup_size: 512
    .name:           _ZN2at6native12_GLOBAL__N_125multi_tensor_apply_kernelINS1_32FusedOptimizerTensorListMetadataILi4EEENS1_20FusedAdamMathFunctorIN3c108BFloat16ELi4ELNS0_9ADAM_MODEE0ELb0EEEJPKfdddddbSB_SB_EEEvT_T0_DpT1_
    .private_segment_fixed_size: 0
    .sgpr_count:     33
    .sgpr_spill_count: 0
    .symbol:         _ZN2at6native12_GLOBAL__N_125multi_tensor_apply_kernelINS1_32FusedOptimizerTensorListMetadataILi4EEENS1_20FusedAdamMathFunctorIN3c108BFloat16ELi4ELNS0_9ADAM_MODEE0ELb0EEEJPKfdddddbSB_SB_EEEvT_T0_DpT1_.kd
    .uniform_work_group_size: 1
    .uses_dynamic_stack: false
    .vgpr_count:     67
    .vgpr_spill_count: 0
    .wavefront_size: 32
    .workgroup_processor_mode: 1
amdhsa.target:   amdgcn-amd-amdhsa--gfx1201
amdhsa.version:
  - 1
  - 2
...

	.end_amdgpu_metadata
